;; amdgpu-corpus repo=ROCm/rocFFT kind=compiled arch=gfx1201 opt=O3
	.text
	.amdgcn_target "amdgcn-amd-amdhsa--gfx1201"
	.amdhsa_code_object_version 6
	.protected	bluestein_single_back_len1323_dim1_sp_op_CI_CI ; -- Begin function bluestein_single_back_len1323_dim1_sp_op_CI_CI
	.globl	bluestein_single_back_len1323_dim1_sp_op_CI_CI
	.p2align	8
	.type	bluestein_single_back_len1323_dim1_sp_op_CI_CI,@function
bluestein_single_back_len1323_dim1_sp_op_CI_CI: ; @bluestein_single_back_len1323_dim1_sp_op_CI_CI
; %bb.0:
	s_load_b128 s[8:11], s[0:1], 0x28
	v_mul_u32_u24_e32 v1, 0x15b, v0
	s_mov_b32 s2, exec_lo
	v_mov_b32_e32 v61, 0
	s_delay_alu instid0(VALU_DEP_2) | instskip(NEXT) | instid1(VALU_DEP_1)
	v_lshrrev_b32_e32 v1, 16, v1
	v_add_nc_u32_e32 v60, ttmp9, v1
	s_wait_kmcnt 0x0
	s_delay_alu instid0(VALU_DEP_1)
	v_cmpx_gt_u64_e64 s[8:9], v[60:61]
	s_cbranch_execz .LBB0_31
; %bb.1:
	s_clause 0x1
	s_load_b128 s[4:7], s[0:1], 0x18
	s_load_b64 s[16:17], s[0:1], 0x0
	v_mul_lo_u16 v1, 0xbd, v1
	s_movk_i32 s2, 0xfd4b
	s_mov_b32 s3, -1
	s_delay_alu instid0(VALU_DEP_1) | instskip(NEXT) | instid1(VALU_DEP_1)
	v_sub_nc_u16 v18, v0, v1
	v_and_b32_e32 v82, 0xffff, v18
	s_wait_kmcnt 0x0
	s_load_b128 s[12:15], s[4:5], 0x0
	s_wait_kmcnt 0x0
	v_mad_co_u64_u32 v[0:1], null, s14, v60, 0
	v_mad_co_u64_u32 v[2:3], null, s12, v82, 0
	s_mul_u64 s[4:5], s[12:13], 0x1b9
	s_mul_u64 s[2:3], s[12:13], s[2:3]
	s_delay_alu instid0(SALU_CYCLE_1) | instskip(NEXT) | instid1(VALU_DEP_1)
	s_lshl_b64 s[2:3], s[2:3], 3
	v_mad_co_u64_u32 v[4:5], null, s15, v60, v[1:2]
	s_delay_alu instid0(VALU_DEP_1) | instskip(NEXT) | instid1(VALU_DEP_3)
	v_mov_b32_e32 v1, v4
	v_mad_co_u64_u32 v[5:6], null, s13, v82, v[3:4]
	v_lshlrev_b32_e32 v81, 3, v82
	s_clause 0x2
	global_load_b64 v[73:74], v81, s[16:17]
	global_load_b64 v[67:68], v81, s[16:17] offset:7056
	global_load_b64 v[63:64], v81, s[16:17] offset:5040
	v_lshlrev_b64_e32 v[0:1], 3, v[0:1]
	s_clause 0x1
	global_load_b64 v[71:72], v81, s[16:17] offset:3528
	global_load_b64 v[65:66], v81, s[16:17] offset:1512
	v_mov_b32_e32 v3, v5
	v_add_co_u32 v0, vcc_lo, s10, v0
	s_delay_alu instid0(VALU_DEP_2) | instskip(SKIP_2) | instid1(VALU_DEP_2)
	v_lshlrev_b64_e32 v[2:3], 3, v[2:3]
	v_add_co_ci_u32_e32 v1, vcc_lo, s11, v1, vcc_lo
	s_lshl_b64 s[10:11], s[4:5], 3
	v_add_co_u32 v0, vcc_lo, v0, v2
	s_wait_alu 0xfffd
	s_delay_alu instid0(VALU_DEP_2) | instskip(SKIP_1) | instid1(VALU_DEP_2)
	v_add_co_ci_u32_e32 v1, vcc_lo, v1, v3, vcc_lo
	s_wait_alu 0xfffe
	v_add_co_u32 v2, vcc_lo, v0, s10
	s_wait_alu 0xfffd
	s_delay_alu instid0(VALU_DEP_2)
	v_add_co_ci_u32_e32 v3, vcc_lo, s11, v1, vcc_lo
	global_load_b64 v[4:5], v[0:1], off
	v_add_co_u32 v0, vcc_lo, v2, s10
	s_wait_alu 0xfffd
	v_add_co_ci_u32_e32 v1, vcc_lo, s11, v3, vcc_lo
	s_clause 0x1
	global_load_b64 v[2:3], v[2:3], off
	global_load_b64 v[8:9], v[0:1], off
	v_add_co_u32 v6, vcc_lo, v0, s2
	s_wait_alu 0xfffd
	v_add_co_ci_u32_e32 v7, vcc_lo, s3, v1, vcc_lo
	s_delay_alu instid0(VALU_DEP_2) | instskip(SKIP_1) | instid1(VALU_DEP_2)
	v_add_co_u32 v10, vcc_lo, v6, s10
	s_wait_alu 0xfffd
	v_add_co_ci_u32_e32 v11, vcc_lo, s11, v7, vcc_lo
	global_load_b64 v[6:7], v[6:7], off
	v_add_co_u32 v0, vcc_lo, v10, s10
	s_wait_alu 0xfffd
	v_add_co_ci_u32_e32 v1, vcc_lo, s11, v11, vcc_lo
	v_cmp_gt_u16_e32 vcc_lo, 63, v18
	s_wait_loadcnt 0x3
	v_mul_f32_e32 v14, v5, v74
	v_mul_f32_e32 v15, v4, v74
	s_delay_alu instid0(VALU_DEP_1) | instskip(SKIP_1) | instid1(VALU_DEP_3)
	v_fma_f32 v15, v5, v73, -v15
	s_wait_loadcnt 0x2
	v_dual_mul_f32 v5, v2, v72 :: v_dual_fmac_f32 v14, v4, v73
	v_mul_f32_e32 v4, v3, v72
	global_load_b64 v[10:11], v[10:11], off
	global_load_b64 v[69:70], v81, s[16:17] offset:8568
	global_load_b64 v[12:13], v[0:1], off
	s_load_b64 s[8:9], s[0:1], 0x38
	s_load_b128 s[4:7], s[6:7], 0x0
	s_wait_loadcnt 0x4
	v_mul_f32_e32 v16, v9, v68
	v_dual_mul_f32 v17, v8, v68 :: v_dual_fmac_f32 v4, v2, v71
	v_fma_f32 v5, v3, v71, -v5
	v_add_co_u32 v61, s12, s16, v81
	s_wait_loadcnt 0x3
	v_mul_f32_e32 v2, v7, v66
	v_dual_mul_f32 v3, v6, v66 :: v_dual_fmac_f32 v16, v8, v67
	v_fma_f32 v17, v9, v67, -v17
	s_wait_alu 0xf1ff
	v_add_co_ci_u32_e64 v62, null, s17, 0, s12
	v_fmac_f32_e32 v2, v6, v65
	v_fma_f32 v3, v7, v65, -v3
	s_wait_loadcnt 0x2
	v_mul_f32_e32 v6, v11, v64
	v_mul_f32_e32 v9, v10, v64
	s_wait_loadcnt 0x0
	v_mul_f32_e32 v19, v12, v70
	v_mul_f32_e32 v8, v13, v70
	v_fmac_f32_e32 v6, v10, v63
	v_fma_f32 v7, v11, v63, -v9
	s_delay_alu instid0(VALU_DEP_4) | instskip(NEXT) | instid1(VALU_DEP_4)
	v_fma_f32 v9, v13, v69, -v19
	v_fmac_f32_e32 v8, v12, v69
	ds_store_b64 v81, v[4:5] offset:3528
	ds_store_b64 v81, v[16:17] offset:7056
	ds_store_2addr_b64 v81, v[14:15], v[2:3] offset1:189
	ds_store_b64 v81, v[6:7] offset:5040
	ds_store_b64 v81, v[8:9] offset:8568
	s_and_saveexec_b32 s12, vcc_lo
	s_cbranch_execz .LBB0_3
; %bb.2:
	v_add_co_u32 v0, s2, v0, s2
	s_wait_alu 0xf1ff
	v_add_co_ci_u32_e64 v1, s2, s3, v1, s2
	global_load_b64 v[4:5], v[61:62], off offset:3024
	global_load_b64 v[2:3], v[0:1], off
	v_add_co_u32 v0, s2, v0, s10
	s_wait_alu 0xf1ff
	v_add_co_ci_u32_e64 v1, s2, s11, v1, s2
	s_delay_alu instid0(VALU_DEP_2) | instskip(SKIP_1) | instid1(VALU_DEP_2)
	v_add_co_u32 v6, s2, v0, s10
	s_wait_alu 0xf1ff
	v_add_co_ci_u32_e64 v7, s2, s11, v1, s2
	global_load_b64 v[0:1], v[0:1], off
	s_clause 0x1
	global_load_b64 v[8:9], v[61:62], off offset:6552
	global_load_b64 v[10:11], v[61:62], off offset:10080
	global_load_b64 v[6:7], v[6:7], off
	s_wait_loadcnt 0x4
	v_mul_f32_e32 v12, v3, v5
	v_mul_f32_e32 v13, v2, v5
	s_wait_loadcnt 0x0
	v_mul_f32_e32 v5, v7, v11
	v_mul_f32_e32 v11, v6, v11
	v_fmac_f32_e32 v12, v2, v4
	v_mul_f32_e32 v2, v1, v9
	v_mul_f32_e32 v9, v0, v9
	v_fmac_f32_e32 v5, v6, v10
	v_fma_f32 v6, v7, v10, -v11
	s_delay_alu instid0(VALU_DEP_4)
	v_fmac_f32_e32 v2, v0, v8
	v_fma_f32 v13, v3, v4, -v13
	v_fma_f32 v3, v1, v8, -v9
	ds_store_b64 v81, v[12:13] offset:3024
	ds_store_b64 v81, v[2:3] offset:6552
	ds_store_b64 v81, v[5:6] offset:10080
.LBB0_3:
	s_wait_alu 0xfffe
	s_or_b32 exec_lo, exec_lo, s12
	v_add_nc_u32_e32 v4, 0xc00, v81
	v_add_nc_u32_e32 v5, 0x1a00, v81
	global_wb scope:SCOPE_SE
	s_wait_dscnt 0x0
	s_wait_kmcnt 0x0
	s_barrier_signal -1
	s_barrier_wait -1
	global_inv scope:SCOPE_SE
	ds_load_2addr_b64 v[0:3], v81 offset1:189
	ds_load_2addr_b64 v[8:11], v4 offset0:57 offset1:246
	ds_load_2addr_b64 v[4:7], v5 offset0:50 offset1:239
                                        ; implicit-def: $vgpr24
                                        ; implicit-def: $vgpr14
                                        ; implicit-def: $vgpr12
	s_and_saveexec_b32 s2, vcc_lo
	s_cbranch_execz .LBB0_5
; %bb.4:
	ds_load_b64 v[24:25], v81 offset:3024
	ds_load_b64 v[14:15], v81 offset:6552
	;; [unrolled: 1-line block ×3, first 2 shown]
.LBB0_5:
	s_wait_alu 0xfffe
	s_or_b32 exec_lo, exec_lo, s2
	v_add_co_u32 v28, s2, 0xbd, v82
	s_wait_alu 0xf1ff
	v_add_co_ci_u32_e64 v16, null, 0, 0, s2
	s_wait_dscnt 0x0
	v_dual_add_f32 v16, v8, v4 :: v_dual_sub_f32 v19, v9, v5
	v_dual_add_f32 v17, v0, v8 :: v_dual_add_f32 v18, v9, v5
	v_dual_add_f32 v9, v1, v9 :: v_dual_sub_f32 v8, v8, v4
	s_delay_alu instid0(VALU_DEP_3) | instskip(SKIP_1) | instid1(VALU_DEP_3)
	v_fma_f32 v0, -0.5, v16, v0
	s_load_b64 s[0:1], s[0:1], 0x8
	v_fma_f32 v1, -0.5, v18, v1
	v_add_f32_e32 v18, v10, v6
	v_add_f32_e32 v16, v17, v4
	v_dual_fmamk_f32 v4, v19, 0x3f5db3d7, v0 :: v_dual_add_f32 v17, v9, v5
	v_dual_fmac_f32 v0, 0xbf5db3d7, v19 :: v_dual_add_f32 v9, v2, v10
	v_sub_f32_e32 v19, v11, v7
	v_fma_f32 v2, -0.5, v18, v2
	v_dual_add_f32 v20, v11, v7 :: v_dual_fmamk_f32 v5, v8, 0xbf5db3d7, v1
	s_delay_alu instid0(VALU_DEP_4) | instskip(SKIP_1) | instid1(VALU_DEP_3)
	v_dual_fmac_f32 v1, 0x3f5db3d7, v8 :: v_dual_add_f32 v8, v9, v6
	v_add_f32_e32 v9, v3, v11
	v_dual_fmamk_f32 v18, v19, 0x3f5db3d7, v2 :: v_dual_fmac_f32 v3, -0.5, v20
	v_sub_f32_e32 v6, v10, v6
	v_fmac_f32_e32 v2, 0xbf5db3d7, v19
	s_delay_alu instid0(VALU_DEP_4) | instskip(SKIP_1) | instid1(VALU_DEP_4)
	v_add_f32_e32 v9, v9, v7
	v_dual_add_f32 v7, v24, v14 :: v_dual_add_f32 v10, v14, v12
	v_fmamk_f32 v19, v6, 0xbf5db3d7, v3
	v_dual_fmac_f32 v3, 0x3f5db3d7, v6 :: v_dual_add_f32 v6, v15, v13
	s_delay_alu instid0(VALU_DEP_3) | instskip(NEXT) | instid1(VALU_DEP_4)
	v_add_f32_e32 v36, v7, v12
	v_dual_fmac_f32 v24, -0.5, v10 :: v_dual_sub_f32 v7, v15, v13
	s_delay_alu instid0(VALU_DEP_3)
	v_dual_add_f32 v10, v25, v15 :: v_dual_fmac_f32 v25, -0.5, v6
	v_mul_lo_u16 v11, v82, 3
	v_sub_f32_e32 v6, v14, v12
	v_add_co_u32 v29, null, 0x17a, v82
	v_fmamk_f32 v26, v7, 0x3f5db3d7, v24
	v_fmac_f32_e32 v24, 0xbf5db3d7, v7
	v_and_b32_e32 v7, 0xffff, v11
	v_fmamk_f32 v27, v6, 0xbf5db3d7, v25
	v_fmac_f32_e32 v25, 0x3f5db3d7, v6
	v_mul_u32_u24_e32 v6, 3, v28
	v_add_f32_e32 v37, v10, v13
	v_lshlrev_b32_e32 v85, 3, v7
	v_mul_u32_u24_e32 v84, 3, v29
	global_wb scope:SCOPE_SE
	v_lshlrev_b32_e32 v83, 3, v6
	s_wait_kmcnt 0x0
	s_barrier_signal -1
	s_barrier_wait -1
	global_inv scope:SCOPE_SE
	ds_store_2addr_b64 v85, v[16:17], v[4:5] offset1:1
	ds_store_b64 v85, v[0:1] offset:16
	ds_store_2addr_b64 v83, v[8:9], v[18:19] offset1:1
	ds_store_b64 v83, v[2:3] offset:16
	s_and_saveexec_b32 s2, vcc_lo
	s_cbranch_execz .LBB0_7
; %bb.6:
	v_lshlrev_b32_e32 v0, 3, v84
	ds_store_2addr_b64 v0, v[36:37], v[26:27] offset1:1
	ds_store_b64 v0, v[24:25] offset:16
.LBB0_7:
	s_wait_alu 0xfffe
	s_or_b32 exec_lo, exec_lo, s2
	v_add_nc_u32_e32 v0, 0xc00, v81
	v_add_nc_u32_e32 v1, 0x1a00, v81
	global_wb scope:SCOPE_SE
	s_wait_dscnt 0x0
	s_barrier_signal -1
	s_barrier_wait -1
	global_inv scope:SCOPE_SE
	ds_load_2addr_b64 v[8:11], v81 offset1:189
	ds_load_2addr_b64 v[20:23], v0 offset0:57 offset1:246
	ds_load_2addr_b64 v[16:19], v1 offset0:50 offset1:239
	s_and_saveexec_b32 s2, vcc_lo
	s_cbranch_execz .LBB0_9
; %bb.8:
	ds_load_b64 v[36:37], v81 offset:3024
	ds_load_b64 v[26:27], v81 offset:6552
	;; [unrolled: 1-line block ×3, first 2 shown]
.LBB0_9:
	s_wait_alu 0xfffe
	s_or_b32 exec_lo, exec_lo, s2
	v_and_b32_e32 v42, 0xff, v82
	v_and_b32_e32 v31, 0xffff, v28
	s_delay_alu instid0(VALU_DEP_2) | instskip(NEXT) | instid1(VALU_DEP_2)
	v_mul_lo_u16 v0, 0xab, v42
	v_mul_u32_u24_e32 v1, 0xaaab, v31
	s_delay_alu instid0(VALU_DEP_2) | instskip(NEXT) | instid1(VALU_DEP_2)
	v_lshrrev_b16 v32, 9, v0
	v_lshrrev_b32_e32 v33, 17, v1
	s_delay_alu instid0(VALU_DEP_2) | instskip(NEXT) | instid1(VALU_DEP_1)
	v_mul_lo_u16 v1, v32, 3
	v_sub_nc_u16 v1, v82, v1
	s_delay_alu instid0(VALU_DEP_1) | instskip(NEXT) | instid1(VALU_DEP_1)
	v_and_b32_e32 v38, 0xff, v1
	v_lshlrev_b32_e32 v1, 4, v38
	global_load_b128 v[12:15], v1, s[0:1]
	v_and_b32_e32 v30, 0xffff, v29
	s_delay_alu instid0(VALU_DEP_1) | instskip(NEXT) | instid1(VALU_DEP_1)
	v_mul_u32_u24_e32 v0, 0xaaab, v30
	v_lshrrev_b32_e32 v34, 17, v0
	v_mul_lo_u16 v0, v33, 3
	s_delay_alu instid0(VALU_DEP_2) | instskip(NEXT) | instid1(VALU_DEP_2)
	v_mul_lo_u16 v2, v34, 3
	v_sub_nc_u16 v35, v28, v0
	s_delay_alu instid0(VALU_DEP_2) | instskip(NEXT) | instid1(VALU_DEP_2)
	v_sub_nc_u16 v39, v29, v2
	v_lshlrev_b16 v0, 1, v35
	v_mad_u16 v33, v33, 9, v35
	s_delay_alu instid0(VALU_DEP_3) | instskip(SKIP_1) | instid1(VALU_DEP_2)
	v_lshlrev_b16 v2, 1, v39
	v_mad_u16 v86, v34, 9, v39
	v_and_b32_e32 v1, 0xffff, v2
	s_delay_alu instid0(VALU_DEP_1) | instskip(SKIP_3) | instid1(VALU_DEP_2)
	v_lshlrev_b32_e32 v1, 3, v1
	s_wait_loadcnt_dscnt 0x0
	v_dual_mul_f32 v35, v16, v15 :: v_dual_and_b32 v0, 0xffff, v0
	v_mul_f32_e32 v34, v17, v15
	v_dual_fmac_f32 v35, v17, v14 :: v_dual_lshlrev_b32 v0, 3, v0
	s_delay_alu instid0(VALU_DEP_2)
	v_fma_f32 v16, v16, v14, -v34
	s_clause 0x1
	global_load_b128 v[4:7], v0, s[0:1]
	global_load_b128 v[0:3], v1, s[0:1]
	v_and_b32_e32 v32, 0xffff, v32
	v_and_b32_e32 v33, 0xffff, v33
	global_wb scope:SCOPE_SE
	s_wait_loadcnt 0x0
	s_barrier_signal -1
	s_barrier_wait -1
	v_mul_u32_u24_e32 v32, 9, v32
	global_inv scope:SCOPE_SE
	v_mul_f32_e32 v34, v18, v7
	v_dual_mul_f32 v40, v25, v3 :: v_dual_lshlrev_b32 v87, 3, v33
	v_mul_f32_e32 v33, v20, v13
	v_mul_f32_e32 v17, v23, v5
	s_delay_alu instid0(VALU_DEP_4) | instskip(NEXT) | instid1(VALU_DEP_4)
	v_dual_fmac_f32 v34, v19, v6 :: v_dual_mul_f32 v41, v24, v3
	v_fma_f32 v24, v24, v2, -v40
	s_delay_alu instid0(VALU_DEP_4)
	v_fmac_f32_e32 v33, v21, v12
	v_add_lshl_u32 v88, v32, v38, 3
	v_mul_f32_e32 v32, v21, v13
	v_mul_f32_e32 v21, v22, v5
	;; [unrolled: 1-line block ×3, first 2 shown]
	v_fma_f32 v22, v22, v4, -v17
	s_delay_alu instid0(VALU_DEP_4) | instskip(SKIP_2) | instid1(VALU_DEP_2)
	v_fma_f32 v20, v20, v12, -v32
	v_dual_mul_f32 v32, v19, v7 :: v_dual_mul_f32 v39, v26, v1
	v_fmac_f32_e32 v21, v23, v4
	v_fma_f32 v23, v18, v6, -v32
	v_fma_f32 v18, v26, v0, -v38
	v_dual_add_f32 v26, v9, v33 :: v_dual_add_f32 v17, v8, v20
	s_delay_alu instid0(VALU_DEP_4) | instskip(NEXT) | instid1(VALU_DEP_4)
	v_sub_f32_e32 v32, v21, v34
	v_dual_fmac_f32 v41, v25, v2 :: v_dual_sub_f32 v40, v22, v23
	v_add_f32_e32 v19, v20, v16
	v_sub_f32_e32 v20, v20, v16
	v_fmac_f32_e32 v39, v27, v0
	v_dual_add_f32 v16, v17, v16 :: v_dual_add_f32 v17, v26, v35
	v_dual_add_f32 v26, v10, v22 :: v_dual_add_f32 v27, v33, v35
	s_delay_alu instid0(VALU_DEP_3) | instskip(SKIP_2) | instid1(VALU_DEP_4)
	v_dual_add_f32 v46, v39, v41 :: v_dual_sub_f32 v25, v33, v35
	v_sub_f32_e32 v44, v39, v41
	v_fma_f32 v8, -0.5, v19, v8
	v_fma_f32 v9, -0.5, v27, v9
	v_dual_add_f32 v27, v22, v23 :: v_dual_add_f32 v22, v36, v18
	v_add_f32_e32 v35, v21, v34
	v_add_f32_e32 v43, v18, v24
	v_dual_sub_f32 v47, v18, v24 :: v_dual_fmamk_f32 v18, v25, 0x3f5db3d7, v8
	s_delay_alu instid0(VALU_DEP_4) | instskip(SKIP_3) | instid1(VALU_DEP_4)
	v_fma_f32 v10, -0.5, v27, v10
	v_add_f32_e32 v33, v11, v21
	v_dual_add_f32 v45, v37, v39 :: v_dual_add_f32 v38, v22, v24
	v_dual_fmac_f32 v8, 0xbf5db3d7, v25 :: v_dual_fmac_f32 v11, -0.5, v35
	v_dual_fmac_f32 v37, -0.5, v46 :: v_dual_fmamk_f32 v22, v32, 0x3f5db3d7, v10
	v_dual_fmac_f32 v36, -0.5, v43 :: v_dual_fmamk_f32 v19, v20, 0xbf5db3d7, v9
	v_fmac_f32_e32 v10, 0xbf5db3d7, v32
	v_dual_fmac_f32 v9, 0x3f5db3d7, v20 :: v_dual_add_f32 v20, v26, v23
	v_add_f32_e32 v21, v33, v34
	v_add_f32_e32 v39, v45, v41
	v_fmamk_f32 v23, v40, 0xbf5db3d7, v11
	v_dual_fmac_f32 v11, 0x3f5db3d7, v40 :: v_dual_fmamk_f32 v40, v44, 0x3f5db3d7, v36
	v_dual_fmac_f32 v36, 0xbf5db3d7, v44 :: v_dual_fmamk_f32 v41, v47, 0xbf5db3d7, v37
	v_fmac_f32_e32 v37, 0x3f5db3d7, v47
	ds_store_2addr_b64 v88, v[16:17], v[18:19] offset1:3
	ds_store_b64 v88, v[8:9] offset:48
	ds_store_2addr_b64 v87, v[20:21], v[22:23] offset1:3
	ds_store_b64 v87, v[10:11] offset:48
	s_and_saveexec_b32 s2, vcc_lo
	s_cbranch_execz .LBB0_11
; %bb.10:
	v_and_b32_e32 v8, 0xffff, v86
	s_delay_alu instid0(VALU_DEP_1)
	v_lshlrev_b32_e32 v8, 3, v8
	ds_store_2addr_b64 v8, v[38:39], v[40:41] offset1:3
	ds_store_b64 v8, v[36:37] offset:48
.LBB0_11:
	s_wait_alu 0xfffe
	s_or_b32 exec_lo, exec_lo, s2
	v_add_nc_u32_e32 v8, 0xc00, v81
	v_add_nc_u32_e32 v9, 0x1a00, v81
	global_wb scope:SCOPE_SE
	s_wait_dscnt 0x0
	s_barrier_signal -1
	s_barrier_wait -1
	global_inv scope:SCOPE_SE
	ds_load_2addr_b64 v[20:23], v81 offset1:189
	ds_load_2addr_b64 v[32:35], v8 offset0:57 offset1:246
	ds_load_2addr_b64 v[24:27], v9 offset0:50 offset1:239
	s_and_saveexec_b32 s2, vcc_lo
	s_cbranch_execz .LBB0_13
; %bb.12:
	ds_load_b64 v[38:39], v81 offset:3024
	ds_load_b64 v[40:41], v81 offset:6552
	;; [unrolled: 1-line block ×3, first 2 shown]
.LBB0_13:
	s_wait_alu 0xfffe
	s_or_b32 exec_lo, exec_lo, s2
	v_mul_lo_u16 v8, v42, 57
	v_mul_u32_u24_e32 v10, 0xe38f, v30
	v_mul_u32_u24_e32 v9, 0xe38f, v31
	s_delay_alu instid0(VALU_DEP_3) | instskip(NEXT) | instid1(VALU_DEP_3)
	v_lshrrev_b16 v43, 9, v8
	v_lshrrev_b32_e32 v45, 19, v10
	s_delay_alu instid0(VALU_DEP_3) | instskip(NEXT) | instid1(VALU_DEP_3)
	v_lshrrev_b32_e32 v44, 19, v9
	v_mul_lo_u16 v8, v43, 9
	s_delay_alu instid0(VALU_DEP_3) | instskip(NEXT) | instid1(VALU_DEP_3)
	v_mul_lo_u16 v10, v45, 9
	v_mul_lo_u16 v9, v44, 9
	s_delay_alu instid0(VALU_DEP_3) | instskip(NEXT) | instid1(VALU_DEP_3)
	v_sub_nc_u16 v8, v82, v8
	v_sub_nc_u16 v47, v29, v10
	s_delay_alu instid0(VALU_DEP_3) | instskip(NEXT) | instid1(VALU_DEP_3)
	v_sub_nc_u16 v46, v28, v9
	v_and_b32_e32 v48, 0xff, v8
	s_delay_alu instid0(VALU_DEP_3) | instskip(NEXT) | instid1(VALU_DEP_3)
	v_lshlrev_b16 v9, 4, v47
	v_lshlrev_b16 v8, 4, v46
	v_mad_u16 v44, v44, 27, v46
	v_mad_u16 v89, v45, 27, v47
	v_lshlrev_b32_e32 v10, 4, v48
	s_delay_alu instid0(VALU_DEP_4)
	v_and_b32_e32 v8, 0xffff, v8
	global_load_b128 v[28:31], v10, s[0:1] offset:48
	v_and_b32_e32 v11, 0xffff, v9
	v_add_co_u32 v8, s2, s0, v8
	s_wait_alu 0xf1ff
	v_add_co_ci_u32_e64 v9, null, s1, 0, s2
	v_and_b32_e32 v43, 0xffff, v43
	s_wait_loadcnt_dscnt 0x0
	v_mul_f32_e32 v46, v24, v31
	v_add_co_u32 v10, s2, s0, v11
	s_wait_alu 0xf1ff
	v_add_co_ci_u32_e64 v11, null, s1, 0, s2
	v_mul_f32_e32 v45, v25, v31
	s_clause 0x1
	global_load_b128 v[16:19], v[8:9], off offset:48
	global_load_b128 v[8:11], v[10:11], off offset:48
	v_and_b32_e32 v44, 0xffff, v44
	global_wb scope:SCOPE_SE
	s_wait_loadcnt 0x0
	s_barrier_signal -1
	s_barrier_wait -1
	global_inv scope:SCOPE_SE
	v_lshlrev_b32_e32 v90, 3, v44
	v_mul_f32_e32 v44, v32, v29
	v_mul_u32_u24_e32 v43, 27, v43
	s_delay_alu instid0(VALU_DEP_2) | instskip(NEXT) | instid1(VALU_DEP_2)
	v_fmac_f32_e32 v44, v33, v28
	v_add_lshl_u32 v91, v43, v48, 3
	v_mul_f32_e32 v43, v33, v29
	v_fma_f32 v33, v24, v30, -v45
	s_delay_alu instid0(VALU_DEP_2)
	v_fma_f32 v32, v32, v28, -v43
	v_mul_f32_e32 v43, v35, v17
	v_dual_mul_f32 v45, v34, v17 :: v_dual_fmac_f32 v46, v25, v30
	v_mul_f32_e32 v47, v27, v19
	v_dual_mul_f32 v48, v26, v19 :: v_dual_mul_f32 v49, v41, v9
	v_dual_mul_f32 v25, v40, v9 :: v_dual_mul_f32 v50, v37, v11
	v_mul_f32_e32 v24, v36, v11
	v_fma_f32 v34, v34, v16, -v43
	v_fmac_f32_e32 v45, v35, v16
	s_delay_alu instid0(VALU_DEP_4)
	v_fmac_f32_e32 v25, v41, v8
	v_fma_f32 v43, v26, v18, -v47
	v_fmac_f32_e32 v48, v27, v18
	v_fma_f32 v27, v40, v8, -v49
	v_dual_add_f32 v40, v21, v44 :: v_dual_add_f32 v41, v44, v46
	v_add_f32_e32 v35, v20, v32
	v_fma_f32 v26, v36, v10, -v50
	v_dual_sub_f32 v47, v34, v43 :: v_dual_add_f32 v36, v32, v33
	s_delay_alu instid0(VALU_DEP_4)
	v_fma_f32 v21, -0.5, v41, v21
	v_sub_f32_e32 v41, v45, v48
	v_fmac_f32_e32 v24, v37, v10
	v_sub_f32_e32 v37, v44, v46
	v_sub_f32_e32 v44, v32, v33
	v_add_f32_e32 v32, v35, v33
	v_fma_f32 v20, -0.5, v36, v20
	v_dual_add_f32 v33, v40, v46 :: v_dual_add_f32 v40, v34, v43
	v_dual_add_f32 v46, v23, v45 :: v_dual_add_f32 v45, v45, v48
	v_fmamk_f32 v35, v44, 0xbf5db3d7, v21
	v_dual_fmac_f32 v21, 0x3f5db3d7, v44 :: v_dual_add_f32 v36, v22, v34
	v_add_f32_e32 v51, v25, v24
	v_dual_add_f32 v49, v27, v26 :: v_dual_sub_f32 v50, v25, v24
	v_sub_f32_e32 v52, v27, v26
	v_fma_f32 v22, -0.5, v40, v22
	s_delay_alu instid0(VALU_DEP_4) | instskip(NEXT) | instid1(VALU_DEP_4)
	v_fma_f32 v76, -0.5, v51, v39
	v_fma_f32 v75, -0.5, v49, v38
	v_dual_fmamk_f32 v34, v37, 0x3f5db3d7, v20 :: v_dual_fmac_f32 v23, -0.5, v45
	v_fmac_f32_e32 v20, 0xbf5db3d7, v37
	s_delay_alu instid0(VALU_DEP_3)
	v_dual_add_f32 v36, v36, v43 :: v_dual_fmamk_f32 v77, v50, 0x3f5db3d7, v75
	v_dual_add_f32 v37, v46, v48 :: v_dual_fmamk_f32 v40, v41, 0x3f5db3d7, v22
	v_dual_fmac_f32 v22, 0xbf5db3d7, v41 :: v_dual_fmac_f32 v75, 0xbf5db3d7, v50
	v_fmamk_f32 v78, v52, 0xbf5db3d7, v76
	v_fmac_f32_e32 v76, 0x3f5db3d7, v52
	v_fmamk_f32 v41, v47, 0xbf5db3d7, v23
	v_fmac_f32_e32 v23, 0x3f5db3d7, v47
	ds_store_2addr_b64 v91, v[32:33], v[34:35] offset1:9
	ds_store_b64 v91, v[20:21] offset:144
	ds_store_2addr_b64 v90, v[36:37], v[40:41] offset1:9
	ds_store_b64 v90, v[22:23] offset:144
	s_and_saveexec_b32 s2, vcc_lo
	s_cbranch_execz .LBB0_15
; %bb.14:
	v_add_f32_e32 v20, v39, v25
	v_dual_add_f32 v22, v38, v27 :: v_dual_and_b32 v23, 0xffff, v89
	s_delay_alu instid0(VALU_DEP_1) | instskip(NEXT) | instid1(VALU_DEP_2)
	v_dual_add_f32 v21, v20, v24 :: v_dual_add_f32 v20, v22, v26
	v_lshlrev_b32_e32 v22, 3, v23
	ds_store_2addr_b64 v22, v[20:21], v[77:78] offset1:9
	ds_store_b64 v22, v[75:76] offset:144
.LBB0_15:
	s_wait_alu 0xfffe
	s_or_b32 exec_lo, exec_lo, s2
	v_mul_lo_u16 v20, v42, 19
	global_wb scope:SCOPE_SE
	s_wait_dscnt 0x0
	s_barrier_signal -1
	s_barrier_wait -1
	global_inv scope:SCOPE_SE
	v_lshrrev_b16 v48, 9, v20
	s_delay_alu instid0(VALU_DEP_1) | instskip(NEXT) | instid1(VALU_DEP_1)
	v_mul_lo_u16 v20, v48, 27
	v_sub_nc_u16 v20, v82, v20
	s_delay_alu instid0(VALU_DEP_1) | instskip(NEXT) | instid1(VALU_DEP_1)
	v_and_b32_e32 v52, 0xff, v20
	v_mad_co_u64_u32 v[20:21], null, v52, 48, s[0:1]
	s_clause 0x2
	global_load_b128 v[32:35], v[20:21], off offset:192
	global_load_b128 v[24:27], v[20:21], off offset:208
	;; [unrolled: 1-line block ×3, first 2 shown]
	v_add_nc_u32_e32 v93, 0xa00, v81
	v_add_nc_u32_e32 v94, 0x1600, v81
	ds_load_2addr_b64 v[36:39], v81 offset1:189
	ds_load_2addr_b64 v[40:43], v93 offset0:58 offset1:247
	ds_load_2addr_b64 v[44:47], v94 offset0:52 offset1:241
	v_and_b32_e32 v50, 0xffff, v48
	ds_load_b64 v[48:49], v81 offset:9072
	global_wb scope:SCOPE_SE
	s_wait_loadcnt_dscnt 0x0
	s_barrier_signal -1
	s_barrier_wait -1
	global_inv scope:SCOPE_SE
	v_dual_mul_f32 v54, v41, v35 :: v_dual_mul_f32 v57, v42, v25
	v_mul_u32_u24_e32 v53, 0xbd, v50
	v_dual_mul_f32 v55, v40, v35 :: v_dual_mul_f32 v56, v43, v25
	v_mul_f32_e32 v95, v49, v23
	v_dual_mul_f32 v58, v45, v27 :: v_dual_mul_f32 v79, v47, v21
	s_delay_alu instid0(VALU_DEP_4) | instskip(SKIP_4) | instid1(VALU_DEP_4)
	v_add_lshl_u32 v92, v53, v52, 3
	v_dual_mul_f32 v52, v39, v33 :: v_dual_mul_f32 v59, v44, v27
	v_mul_f32_e32 v53, v38, v33
	v_mul_f32_e32 v80, v46, v21
	v_dual_mul_f32 v96, v48, v23 :: v_dual_fmac_f32 v55, v41, v34
	v_fma_f32 v38, v38, v32, -v52
	s_delay_alu instid0(VALU_DEP_4)
	v_fmac_f32_e32 v53, v39, v32
	v_fma_f32 v39, v40, v34, -v54
	v_fma_f32 v40, v42, v24, -v56
	v_dual_fmac_f32 v57, v43, v24 :: v_dual_fmac_f32 v96, v49, v22
	v_fma_f32 v42, v48, v22, -v95
	v_dual_fmac_f32 v59, v45, v26 :: v_dual_fmac_f32 v80, v47, v20
	v_fma_f32 v43, v46, v20, -v79
	v_fma_f32 v41, v44, v26, -v58
	s_delay_alu instid0(VALU_DEP_4) | instskip(NEXT) | instid1(VALU_DEP_4)
	v_dual_add_f32 v44, v38, v42 :: v_dual_add_f32 v45, v53, v96
	v_dual_sub_f32 v38, v38, v42 :: v_dual_add_f32 v47, v55, v80
	v_add_f32_e32 v49, v57, v59
	v_add_f32_e32 v46, v39, v43
	v_dual_sub_f32 v42, v53, v96 :: v_dual_sub_f32 v39, v39, v43
	v_dual_sub_f32 v43, v55, v80 :: v_dual_add_f32 v48, v40, v41
	v_dual_sub_f32 v40, v41, v40 :: v_dual_sub_f32 v41, v59, v57
	v_add_f32_e32 v53, v47, v45
	v_sub_f32_e32 v55, v47, v45
	v_dual_sub_f32 v45, v45, v49 :: v_dual_add_f32 v52, v46, v44
	v_sub_f32_e32 v54, v46, v44
	v_sub_f32_e32 v44, v44, v48
	v_dual_sub_f32 v46, v48, v46 :: v_dual_sub_f32 v47, v49, v47
	v_add_f32_e32 v56, v40, v39
	v_add_f32_e32 v57, v41, v43
	v_dual_sub_f32 v58, v40, v39 :: v_dual_sub_f32 v39, v39, v38
	v_dual_sub_f32 v59, v41, v43 :: v_dual_add_f32 v48, v48, v52
	v_sub_f32_e32 v41, v42, v41
	v_dual_sub_f32 v43, v43, v42 :: v_dual_mul_f32 v44, 0x3f4a47b2, v44
	v_dual_add_f32 v49, v49, v53 :: v_dual_sub_f32 v40, v38, v40
	v_add_f32_e32 v38, v56, v38
	v_dual_add_f32 v42, v57, v42 :: v_dual_mul_f32 v45, 0x3f4a47b2, v45
	v_dual_mul_f32 v52, 0x3d64c772, v46 :: v_dual_mul_f32 v53, 0x3d64c772, v47
	v_dual_mul_f32 v56, 0xbf08b237, v58 :: v_dual_mul_f32 v57, 0xbf08b237, v59
	v_dual_mul_f32 v58, 0x3f5ff5aa, v39 :: v_dual_add_f32 v37, v37, v49
	v_dual_mul_f32 v59, 0x3f5ff5aa, v43 :: v_dual_add_f32 v36, v36, v48
	v_dual_fmamk_f32 v46, v46, 0x3d64c772, v44 :: v_dual_fmamk_f32 v47, v47, 0x3d64c772, v45
	v_fma_f32 v52, 0x3f3bfb3b, v54, -v52
	v_fma_f32 v53, 0x3f3bfb3b, v55, -v53
	;; [unrolled: 1-line block ×4, first 2 shown]
	v_dual_fmamk_f32 v54, v40, 0x3eae86e6, v56 :: v_dual_fmamk_f32 v55, v41, 0x3eae86e6, v57
	v_fma_f32 v56, 0x3f5ff5aa, v39, -v56
	v_fma_f32 v58, 0xbeae86e6, v40, -v58
	v_dual_fmamk_f32 v39, v48, 0xbf955555, v36 :: v_dual_fmamk_f32 v40, v49, 0xbf955555, v37
	v_fma_f32 v57, 0x3f5ff5aa, v43, -v57
	v_fma_f32 v59, 0xbeae86e6, v41, -v59
	v_fmac_f32_e32 v54, 0x3ee1c552, v38
	s_delay_alu instid0(VALU_DEP_4)
	v_dual_fmac_f32 v55, 0x3ee1c552, v42 :: v_dual_add_f32 v48, v46, v39
	v_dual_add_f32 v49, v47, v40 :: v_dual_fmac_f32 v56, 0x3ee1c552, v38
	v_add_f32_e32 v47, v44, v39
	v_dual_fmac_f32 v57, 0x3ee1c552, v42 :: v_dual_add_f32 v46, v52, v39
	v_fmac_f32_e32 v58, 0x3ee1c552, v38
	v_dual_fmac_f32 v59, 0x3ee1c552, v42 :: v_dual_add_f32 v52, v45, v40
	v_add_f32_e32 v45, v53, v40
	v_mad_co_u64_u32 v[50:51], null, v82, 48, s[0:1]
	v_dual_add_f32 v38, v55, v48 :: v_dual_sub_f32 v39, v49, v54
	s_delay_alu instid0(VALU_DEP_4)
	v_dual_add_f32 v40, v59, v47 :: v_dual_sub_f32 v41, v52, v58
	v_sub_f32_e32 v42, v46, v57
	v_dual_add_f32 v43, v56, v45 :: v_dual_add_f32 v44, v57, v46
	v_dual_sub_f32 v45, v45, v56 :: v_dual_sub_f32 v46, v47, v59
	v_dual_add_f32 v47, v58, v52 :: v_dual_sub_f32 v48, v48, v55
	v_add_f32_e32 v49, v54, v49
	ds_store_2addr_b64 v92, v[36:37], v[38:39] offset1:27
	ds_store_2addr_b64 v92, v[40:41], v[42:43] offset0:54 offset1:81
	ds_store_2addr_b64 v92, v[44:45], v[46:47] offset0:108 offset1:135
	ds_store_b64 v92, v[48:49] offset:1296
	global_wb scope:SCOPE_SE
	s_wait_dscnt 0x0
	s_barrier_signal -1
	s_barrier_wait -1
	global_inv scope:SCOPE_SE
	s_clause 0x2
	global_load_b128 v[44:47], v[50:51], off offset:1488
	global_load_b128 v[40:43], v[50:51], off offset:1504
	;; [unrolled: 1-line block ×3, first 2 shown]
	ds_load_2addr_b64 v[48:51], v81 offset1:189
	ds_load_2addr_b64 v[52:55], v93 offset0:58 offset1:247
	ds_load_2addr_b64 v[56:59], v94 offset0:52 offset1:241
	ds_load_b64 v[79:80], v81 offset:9072
	s_add_nc_u64 s[0:1], s[16:17], 0x2958
	s_wait_loadcnt_dscnt 0x202
	v_dual_mul_f32 v95, v51, v45 :: v_dual_mul_f32 v98, v52, v47
	v_dual_mul_f32 v96, v50, v45 :: v_dual_mul_f32 v97, v53, v47
	s_wait_loadcnt_dscnt 0x101
	v_dual_mul_f32 v99, v55, v41 :: v_dual_mul_f32 v102, v56, v43
	v_dual_mul_f32 v100, v54, v41 :: v_dual_mul_f32 v101, v57, v43
	s_wait_loadcnt_dscnt 0x0
	v_dual_mul_f32 v104, v58, v37 :: v_dual_mul_f32 v105, v80, v39
	v_dual_mul_f32 v103, v59, v37 :: v_dual_fmac_f32 v98, v53, v46
	s_delay_alu instid0(VALU_DEP_3)
	v_fma_f32 v53, v56, v42, -v101
	v_fmac_f32_e32 v96, v51, v44
	v_fma_f32 v51, v52, v46, -v97
	v_fma_f32 v52, v54, v40, -v99
	v_fmac_f32_e32 v104, v59, v36
	v_mul_f32_e32 v106, v79, v39
	v_fma_f32 v50, v50, v44, -v95
	v_fma_f32 v54, v79, v38, -v105
	s_delay_alu instid0(VALU_DEP_4) | instskip(NEXT) | instid1(VALU_DEP_4)
	v_dual_fmac_f32 v102, v57, v42 :: v_dual_add_f32 v59, v98, v104
	v_fmac_f32_e32 v106, v80, v38
	v_dual_add_f32 v79, v52, v53 :: v_dual_fmac_f32 v100, v55, v40
	v_fma_f32 v55, v58, v36, -v103
	s_delay_alu instid0(VALU_DEP_1)
	v_add_f32_e32 v58, v51, v55
	v_sub_f32_e32 v51, v51, v55
	v_add_f32_e32 v57, v96, v106
	v_dual_sub_f32 v55, v98, v104 :: v_dual_add_f32 v80, v100, v102
	v_add_f32_e32 v56, v50, v54
	v_sub_f32_e32 v52, v53, v52
	v_sub_f32_e32 v50, v50, v54
	v_dual_sub_f32 v54, v96, v106 :: v_dual_sub_f32 v53, v102, v100
	s_delay_alu instid0(VALU_DEP_3) | instskip(SKIP_1) | instid1(VALU_DEP_3)
	v_dual_sub_f32 v98, v59, v57 :: v_dual_sub_f32 v101, v52, v51
	v_add_f32_e32 v99, v52, v51
	v_dual_sub_f32 v51, v51, v50 :: v_dual_add_f32 v100, v53, v55
	s_delay_alu instid0(VALU_DEP_4) | instskip(SKIP_4) | instid1(VALU_DEP_4)
	v_dual_sub_f32 v102, v53, v55 :: v_dual_sub_f32 v53, v54, v53
	v_dual_add_f32 v96, v59, v57 :: v_dual_sub_f32 v57, v57, v80
	v_sub_f32_e32 v97, v58, v56
	v_dual_add_f32 v95, v58, v56 :: v_dual_sub_f32 v56, v56, v79
	v_sub_f32_e32 v55, v55, v54
	v_dual_sub_f32 v58, v79, v58 :: v_dual_mul_f32 v57, 0x3f4a47b2, v57
	v_dual_sub_f32 v59, v80, v59 :: v_dual_sub_f32 v52, v50, v52
	s_delay_alu instid0(VALU_DEP_4)
	v_dual_add_f32 v79, v79, v95 :: v_dual_add_f32 v80, v80, v96
	v_add_f32_e32 v50, v99, v50
	v_mul_f32_e32 v56, 0x3f4a47b2, v56
	v_mul_f32_e32 v95, 0x3d64c772, v58
	;; [unrolled: 1-line block ×4, first 2 shown]
	s_delay_alu instid0(VALU_DEP_4) | instskip(NEXT) | instid1(VALU_DEP_4)
	v_dual_add_f32 v49, v49, v80 :: v_dual_fmamk_f32 v58, v58, 0x3d64c772, v56
	v_fma_f32 v95, 0x3f3bfb3b, v97, -v95
	v_fma_f32 v56, 0xbf3bfb3b, v97, -v56
	v_fmamk_f32 v97, v52, 0x3eae86e6, v99
	v_add_f32_e32 v48, v48, v79
	v_add_f32_e32 v54, v100, v54
	v_fma_f32 v99, 0x3f5ff5aa, v51, -v99
	v_fma_f32 v101, 0xbeae86e6, v52, -v101
	v_fmamk_f32 v52, v80, 0xbf955555, v49
	v_dual_mul_f32 v96, 0x3d64c772, v59 :: v_dual_fmamk_f32 v59, v59, 0x3d64c772, v57
	v_fma_f32 v57, 0xbf3bfb3b, v98, -v57
	v_fmac_f32_e32 v97, 0x3ee1c552, v50
	v_fmamk_f32 v51, v79, 0xbf955555, v48
	v_mul_f32_e32 v100, 0xbf08b237, v102
	v_fmac_f32_e32 v101, 0x3ee1c552, v50
	v_dual_fmac_f32 v99, 0x3ee1c552, v50 :: v_dual_add_f32 v80, v59, v52
	s_delay_alu instid0(VALU_DEP_4)
	v_add_f32_e32 v79, v58, v51
	v_dual_add_f32 v58, v95, v51 :: v_dual_add_f32 v95, v57, v52
	v_fma_f32 v96, 0x3f3bfb3b, v98, -v96
	v_mul_f32_e32 v102, 0x3f5ff5aa, v55
	v_dual_add_f32 v59, v56, v51 :: v_dual_fmamk_f32 v98, v53, 0x3eae86e6, v100
	v_fma_f32 v100, 0x3f5ff5aa, v55, -v100
	s_delay_alu instid0(VALU_DEP_4) | instskip(NEXT) | instid1(VALU_DEP_4)
	v_add_f32_e32 v57, v96, v52
	v_fma_f32 v102, 0xbeae86e6, v53, -v102
	s_delay_alu instid0(VALU_DEP_4) | instskip(NEXT) | instid1(VALU_DEP_4)
	v_dual_sub_f32 v51, v80, v97 :: v_dual_fmac_f32 v98, 0x3ee1c552, v54
	v_dual_sub_f32 v53, v95, v101 :: v_dual_fmac_f32 v100, 0x3ee1c552, v54
	s_delay_alu instid0(VALU_DEP_3) | instskip(SKIP_1) | instid1(VALU_DEP_4)
	v_dual_add_f32 v55, v99, v57 :: v_dual_fmac_f32 v102, 0x3ee1c552, v54
	v_sub_f32_e32 v57, v57, v99
	v_dual_add_f32 v50, v98, v79 :: v_dual_sub_f32 v79, v79, v98
	s_delay_alu instid0(VALU_DEP_4) | instskip(NEXT) | instid1(VALU_DEP_4)
	v_sub_f32_e32 v54, v58, v100
	v_add_f32_e32 v52, v102, v59
	v_add_f32_e32 v56, v100, v58
	v_dual_sub_f32 v58, v59, v102 :: v_dual_add_f32 v59, v101, v95
	v_add_f32_e32 v80, v97, v80
	ds_store_2addr_b64 v81, v[48:49], v[50:51] offset1:189
	ds_store_2addr_b64 v93, v[52:53], v[54:55] offset0:58 offset1:247
	ds_store_2addr_b64 v94, v[56:57], v[58:59] offset0:52 offset1:241
	ds_store_b64 v81, v[79:80] offset:9072
	global_wb scope:SCOPE_SE
	s_wait_dscnt 0x0
	s_barrier_signal -1
	s_barrier_wait -1
	global_inv scope:SCOPE_SE
	s_clause 0x5
	global_load_b64 v[52:53], v[61:62], off offset:10584
	global_load_b64 v[54:55], v81, s[0:1] offset:5040
	global_load_b64 v[57:58], v81, s[0:1] offset:1512
	;; [unrolled: 1-line block ×5, first 2 shown]
	ds_load_2addr_b64 v[48:51], v81 offset1:189
	v_add_nc_u32_e32 v59, 0x13a0, v81
	s_wait_loadcnt_dscnt 0x500
	v_mul_f32_e32 v56, v49, v53
	v_mul_f32_e32 v94, v48, v53
	v_add_nc_u32_e32 v53, 0x5e0, v81
	s_delay_alu instid0(VALU_DEP_3) | instskip(SKIP_1) | instid1(VALU_DEP_3)
	v_fma_f32 v93, v48, v52, -v56
	s_wait_loadcnt 0x3
	v_dual_fmac_f32 v94, v49, v52 :: v_dual_mul_f32 v49, v50, v58
	v_add_nc_u32_e32 v52, 0xc00, v81
	v_add_nc_u32_e32 v56, 0x1a00, v81
	s_delay_alu instid0(VALU_DEP_3)
	v_fmac_f32_e32 v49, v51, v57
	ds_store_b64 v81, v[93:94]
	ds_load_2addr_b64 v[93:96], v52 offset0:57 offset1:246
	ds_load_2addr_b64 v[97:100], v56 offset0:50 offset1:239
	v_mul_f32_e32 v48, v51, v58
	s_wait_loadcnt_dscnt 0x201
	v_mul_f32_e32 v51, v93, v102
	s_wait_loadcnt_dscnt 0x0
	v_dual_mul_f32 v58, v97, v104 :: v_dual_mul_f32 v107, v100, v106
	s_delay_alu instid0(VALU_DEP_2)
	v_fmac_f32_e32 v51, v94, v101
	v_fma_f32 v48, v50, v57, -v48
	v_mul_f32_e32 v50, v94, v102
	v_dual_mul_f32 v57, v98, v104 :: v_dual_mul_f32 v104, v96, v55
	v_mul_f32_e32 v102, v95, v55
	v_dual_mul_f32 v55, v99, v106 :: v_dual_fmac_f32 v58, v98, v103
	s_delay_alu instid0(VALU_DEP_3) | instskip(NEXT) | instid1(VALU_DEP_3)
	v_fma_f32 v57, v97, v103, -v57
	v_fmac_f32_e32 v102, v96, v54
	s_delay_alu instid0(VALU_DEP_3)
	v_fmac_f32_e32 v55, v100, v105
	v_fma_f32 v50, v93, v101, -v50
	v_fma_f32 v101, v95, v54, -v104
	;; [unrolled: 1-line block ×3, first 2 shown]
	ds_store_2addr_b64 v53, v[48:49], v[50:51] offset0:1 offset1:253
	ds_store_2addr_b64 v59, v[101:102], v[57:58] offset0:2 offset1:254
	ds_store_b64 v81, v[54:55] offset:8568
	s_and_saveexec_b32 s2, vcc_lo
	s_cbranch_execz .LBB0_17
; %bb.16:
	s_wait_alu 0xfffe
	v_add_co_u32 v48, s0, s0, v81
	s_wait_alu 0xf1ff
	v_add_co_ci_u32_e64 v49, null, s1, 0, s0
	s_clause 0x2
	global_load_b64 v[50:51], v[48:49], off offset:3024
	global_load_b64 v[53:54], v[48:49], off offset:6552
	;; [unrolled: 1-line block ×3, first 2 shown]
	ds_load_b64 v[57:58], v81 offset:3024
	ds_load_b64 v[93:94], v81 offset:6552
	;; [unrolled: 1-line block ×3, first 2 shown]
	s_wait_loadcnt_dscnt 0x202
	v_mul_f32_e32 v97, v58, v51
	s_wait_loadcnt_dscnt 0x101
	v_dual_mul_f32 v55, v57, v51 :: v_dual_mul_f32 v98, v94, v54
	v_mul_f32_e32 v51, v93, v54
	s_wait_loadcnt_dscnt 0x0
	v_mul_f32_e32 v99, v96, v49
	v_mul_f32_e32 v59, v95, v49
	v_fma_f32 v54, v57, v50, -v97
	v_fmac_f32_e32 v55, v58, v50
	v_fma_f32 v50, v93, v53, -v98
	v_fmac_f32_e32 v51, v94, v53
	;; [unrolled: 2-line block ×3, first 2 shown]
	ds_store_b64 v81, v[54:55] offset:3024
	ds_store_b64 v81, v[50:51] offset:6552
	;; [unrolled: 1-line block ×3, first 2 shown]
.LBB0_17:
	s_wait_alu 0xfffe
	s_or_b32 exec_lo, exec_lo, s2
	global_wb scope:SCOPE_SE
	s_wait_dscnt 0x0
	s_barrier_signal -1
	s_barrier_wait -1
	global_inv scope:SCOPE_SE
	ds_load_2addr_b64 v[48:51], v81 offset1:189
	ds_load_2addr_b64 v[52:55], v52 offset0:57 offset1:246
	ds_load_2addr_b64 v[56:59], v56 offset0:50 offset1:239
	s_and_saveexec_b32 s0, vcc_lo
	s_cbranch_execz .LBB0_19
; %bb.18:
	ds_load_b64 v[79:80], v81 offset:3024
	ds_load_b64 v[77:78], v81 offset:6552
	;; [unrolled: 1-line block ×3, first 2 shown]
.LBB0_19:
	s_wait_alu 0xfffe
	s_or_b32 exec_lo, exec_lo, s0
	s_wait_dscnt 0x0
	v_dual_add_f32 v93, v52, v56 :: v_dual_add_f32 v96, v53, v57
	v_dual_add_f32 v94, v48, v52 :: v_dual_sub_f32 v95, v53, v57
	v_add_f32_e32 v53, v49, v53
	s_delay_alu instid0(VALU_DEP_3) | instskip(SKIP_1) | instid1(VALU_DEP_4)
	v_fma_f32 v48, -0.5, v93, v48
	v_sub_f32_e32 v93, v52, v56
	v_add_f32_e32 v52, v94, v56
	v_fma_f32 v49, -0.5, v96, v49
	global_wb scope:SCOPE_SE
	v_fmamk_f32 v56, v95, 0xbf5db3d7, v48
	v_dual_fmac_f32 v48, 0x3f5db3d7, v95 :: v_dual_add_f32 v53, v53, v57
	v_dual_add_f32 v94, v54, v58 :: v_dual_fmamk_f32 v57, v93, 0x3f5db3d7, v49
	v_dual_add_f32 v95, v50, v54 :: v_dual_add_f32 v96, v55, v59
	v_fmac_f32_e32 v49, 0xbf5db3d7, v93
	s_delay_alu instid0(VALU_DEP_3) | instskip(SKIP_1) | instid1(VALU_DEP_4)
	v_fma_f32 v50, -0.5, v94, v50
	v_sub_f32_e32 v94, v55, v59
	v_add_f32_e32 v93, v95, v58
	v_dual_add_f32 v55, v51, v55 :: v_dual_sub_f32 v58, v54, v58
	s_delay_alu instid0(VALU_DEP_3) | instskip(SKIP_1) | instid1(VALU_DEP_3)
	v_dual_fmac_f32 v51, -0.5, v96 :: v_dual_fmamk_f32 v54, v94, 0xbf5db3d7, v50
	v_fmac_f32_e32 v50, 0x3f5db3d7, v94
	v_add_f32_e32 v94, v55, v59
	v_add_f32_e32 v59, v77, v75
	s_delay_alu instid0(VALU_DEP_4) | instskip(SKIP_2) | instid1(VALU_DEP_4)
	v_fmamk_f32 v55, v58, 0x3f5db3d7, v51
	v_dual_fmac_f32 v51, 0xbf5db3d7, v58 :: v_dual_add_f32 v58, v78, v76
	v_add_f32_e32 v95, v79, v77
	v_fmac_f32_e32 v79, -0.5, v59
	v_dual_sub_f32 v59, v78, v76 :: v_dual_add_f32 v78, v80, v78
	s_delay_alu instid0(VALU_DEP_4)
	v_fmac_f32_e32 v80, -0.5, v58
	v_sub_f32_e32 v58, v77, v75
	v_add_f32_e32 v75, v95, v75
	s_barrier_signal -1
	v_add_f32_e32 v76, v78, v76
	s_barrier_wait -1
	v_fmamk_f32 v78, v58, 0x3f5db3d7, v80
	v_dual_fmac_f32 v80, 0xbf5db3d7, v58 :: v_dual_fmamk_f32 v77, v59, 0xbf5db3d7, v79
	v_fmac_f32_e32 v79, 0x3f5db3d7, v59
	global_inv scope:SCOPE_SE
	ds_store_2addr_b64 v85, v[52:53], v[56:57] offset1:1
	ds_store_b64 v85, v[48:49] offset:16
	ds_store_2addr_b64 v83, v[93:94], v[54:55] offset1:1
	ds_store_b64 v83, v[50:51] offset:16
	s_and_saveexec_b32 s0, vcc_lo
	s_cbranch_execz .LBB0_21
; %bb.20:
	v_lshlrev_b32_e32 v48, 3, v84
	ds_store_2addr_b64 v48, v[75:76], v[77:78] offset1:1
	ds_store_b64 v48, v[79:80] offset:16
.LBB0_21:
	s_wait_alu 0xfffe
	s_or_b32 exec_lo, exec_lo, s0
	v_add_nc_u32_e32 v52, 0xc00, v81
	v_add_nc_u32_e32 v53, 0x1a00, v81
	global_wb scope:SCOPE_SE
	s_wait_dscnt 0x0
	s_barrier_signal -1
	s_barrier_wait -1
	global_inv scope:SCOPE_SE
	ds_load_2addr_b64 v[48:51], v81 offset1:189
	ds_load_2addr_b64 v[56:59], v52 offset0:57 offset1:246
	ds_load_2addr_b64 v[52:55], v53 offset0:50 offset1:239
	s_and_saveexec_b32 s0, vcc_lo
	s_cbranch_execz .LBB0_23
; %bb.22:
	ds_load_b64 v[75:76], v81 offset:3024
	ds_load_b64 v[77:78], v81 offset:6552
	;; [unrolled: 1-line block ×3, first 2 shown]
.LBB0_23:
	s_wait_alu 0xfffe
	s_or_b32 exec_lo, exec_lo, s0
	s_wait_dscnt 0x0
	v_mul_f32_e32 v84, v15, v53
	v_mul_f32_e32 v15, v15, v52
	;; [unrolled: 1-line block ×3, first 2 shown]
	global_wb scope:SCOPE_SE
	s_barrier_signal -1
	v_fmac_f32_e32 v84, v14, v52
	v_fma_f32 v14, v14, v53, -v15
	v_mul_f32_e32 v15, v7, v55
	v_mul_f32_e32 v7, v7, v54
	;; [unrolled: 1-line block ×3, first 2 shown]
	v_fmac_f32_e32 v83, v12, v56
	s_barrier_wait -1
	global_inv scope:SCOPE_SE
	v_fma_f32 v7, v6, v55, -v7
	v_dual_fmac_f32 v15, v6, v54 :: v_dual_mul_f32 v54, v3, v80
	v_mul_f32_e32 v13, v13, v56
	s_delay_alu instid0(VALU_DEP_2) | instskip(NEXT) | instid1(VALU_DEP_2)
	v_dual_fmac_f32 v53, v0, v77 :: v_dual_fmac_f32 v54, v2, v79
	v_fma_f32 v12, v12, v57, -v13
	v_mul_f32_e32 v13, v5, v59
	v_mul_f32_e32 v5, v5, v58
	s_delay_alu instid0(VALU_DEP_3) | instskip(NEXT) | instid1(VALU_DEP_2)
	v_add_f32_e32 v6, v49, v12
	v_fma_f32 v52, v4, v59, -v5
	v_mul_f32_e32 v1, v1, v77
	s_delay_alu instid0(VALU_DEP_1) | instskip(SKIP_3) | instid1(VALU_DEP_3)
	v_fma_f32 v55, v0, v78, -v1
	v_dual_add_f32 v0, v83, v84 :: v_dual_fmac_f32 v13, v4, v58
	v_mul_f32_e32 v3, v3, v79
	v_add_f32_e32 v1, v48, v83
	v_fma_f32 v0, -0.5, v0, v48
	v_sub_f32_e32 v48, v52, v7
	s_delay_alu instid0(VALU_DEP_4) | instskip(SKIP_3) | instid1(VALU_DEP_3)
	v_fma_f32 v56, v2, v80, -v3
	v_add_f32_e32 v3, v12, v14
	v_dual_sub_f32 v5, v12, v14 :: v_dual_add_f32 v2, v1, v84
	v_sub_f32_e32 v12, v83, v84
	v_fma_f32 v1, -0.5, v3, v49
	s_delay_alu instid0(VALU_DEP_3) | instskip(SKIP_1) | instid1(VALU_DEP_3)
	v_fmamk_f32 v4, v5, 0xbf5db3d7, v0
	v_dual_fmac_f32 v0, 0x3f5db3d7, v5 :: v_dual_add_f32 v3, v6, v14
	v_dual_add_f32 v14, v50, v13 :: v_dual_fmamk_f32 v5, v12, 0x3f5db3d7, v1
	v_dual_fmac_f32 v1, 0xbf5db3d7, v12 :: v_dual_add_f32 v12, v52, v7
	v_add_f32_e32 v6, v13, v15
	v_add_f32_e32 v49, v76, v55
	s_delay_alu instid0(VALU_DEP_2) | instskip(SKIP_3) | instid1(VALU_DEP_4)
	v_fma_f32 v50, -0.5, v6, v50
	v_add_f32_e32 v6, v14, v15
	v_add_f32_e32 v14, v51, v52
	v_fmac_f32_e32 v51, -0.5, v12
	v_dual_sub_f32 v15, v13, v15 :: v_dual_fmamk_f32 v12, v48, 0xbf5db3d7, v50
	v_fmac_f32_e32 v50, 0x3f5db3d7, v48
	s_delay_alu instid0(VALU_DEP_4) | instskip(SKIP_1) | instid1(VALU_DEP_2)
	v_dual_add_f32 v48, v75, v53 :: v_dual_add_f32 v7, v14, v7
	v_add_f32_e32 v14, v53, v54
	v_dual_add_f32 v49, v49, v56 :: v_dual_add_f32 v48, v48, v54
	s_delay_alu instid0(VALU_DEP_2)
	v_dual_fmac_f32 v75, -0.5, v14 :: v_dual_sub_f32 v14, v55, v56
	v_fmamk_f32 v13, v15, 0x3f5db3d7, v51
	v_fmac_f32_e32 v51, 0xbf5db3d7, v15
	v_add_f32_e32 v15, v55, v56
	ds_store_2addr_b64 v88, v[2:3], v[4:5] offset1:3
	ds_store_b64 v88, v[0:1] offset:48
	ds_store_2addr_b64 v87, v[6:7], v[12:13] offset1:3
	ds_store_b64 v87, v[50:51] offset:48
	v_fmamk_f32 v52, v14, 0xbf5db3d7, v75
	v_dual_fmac_f32 v76, -0.5, v15 :: v_dual_sub_f32 v15, v53, v54
	s_delay_alu instid0(VALU_DEP_1)
	v_fmamk_f32 v53, v15, 0x3f5db3d7, v76
	v_fmac_f32_e32 v76, 0xbf5db3d7, v15
	v_fmac_f32_e32 v75, 0x3f5db3d7, v14
	s_and_saveexec_b32 s0, vcc_lo
	s_cbranch_execz .LBB0_25
; %bb.24:
	v_and_b32_e32 v0, 0xffff, v86
	s_delay_alu instid0(VALU_DEP_1)
	v_lshlrev_b32_e32 v0, 3, v0
	ds_store_2addr_b64 v0, v[48:49], v[52:53] offset1:3
	ds_store_b64 v0, v[75:76] offset:48
.LBB0_25:
	s_wait_alu 0xfffe
	s_or_b32 exec_lo, exec_lo, s0
	v_add_nc_u32_e32 v4, 0xc00, v81
	v_add_nc_u32_e32 v5, 0x1a00, v81
	global_wb scope:SCOPE_SE
	s_wait_dscnt 0x0
	s_barrier_signal -1
	s_barrier_wait -1
	global_inv scope:SCOPE_SE
	ds_load_2addr_b64 v[0:3], v81 offset1:189
	ds_load_2addr_b64 v[12:15], v4 offset0:57 offset1:246
	ds_load_2addr_b64 v[4:7], v5 offset0:50 offset1:239
	s_and_saveexec_b32 s0, vcc_lo
	s_cbranch_execz .LBB0_27
; %bb.26:
	ds_load_b64 v[48:49], v81 offset:3024
	ds_load_b64 v[52:53], v81 offset:6552
	;; [unrolled: 1-line block ×3, first 2 shown]
.LBB0_27:
	s_wait_alu 0xfffe
	s_or_b32 exec_lo, exec_lo, s0
	s_wait_dscnt 0x1
	v_mul_f32_e32 v50, v29, v13
	v_mul_f32_e32 v29, v29, v12
	s_wait_dscnt 0x0
	v_mul_f32_e32 v51, v31, v5
	v_mul_f32_e32 v31, v31, v4
	global_wb scope:SCOPE_SE
	v_fmac_f32_e32 v50, v28, v12
	v_fma_f32 v12, v28, v13, -v29
	v_mul_f32_e32 v13, v17, v15
	v_dual_fmac_f32 v51, v30, v4 :: v_dual_mul_f32 v4, v17, v14
	v_fma_f32 v5, v30, v5, -v31
	v_mul_f32_e32 v17, v19, v7
	s_delay_alu instid0(VALU_DEP_4)
	v_fmac_f32_e32 v13, v16, v14
	v_mul_f32_e32 v14, v19, v6
	v_fma_f32 v15, v16, v15, -v4
	v_add_f32_e32 v4, v50, v51
	s_barrier_signal -1
	s_barrier_wait -1
	v_fma_f32 v16, v18, v7, -v14
	v_dual_sub_f32 v14, v12, v5 :: v_dual_fmac_f32 v17, v18, v6
	v_add_f32_e32 v6, v0, v50
	v_add_f32_e32 v7, v12, v5
	v_fma_f32 v0, -0.5, v4, v0
	v_add_f32_e32 v12, v1, v12
	v_sub_f32_e32 v18, v50, v51
	v_add_f32_e32 v4, v6, v51
	v_fma_f32 v1, -0.5, v7, v1
	v_sub_f32_e32 v28, v13, v17
	v_dual_add_f32 v5, v12, v5 :: v_dual_fmamk_f32 v6, v14, 0xbf5db3d7, v0
	s_delay_alu instid0(VALU_DEP_3) | instskip(SKIP_3) | instid1(VALU_DEP_3)
	v_dual_fmac_f32 v0, 0x3f5db3d7, v14 :: v_dual_fmamk_f32 v7, v18, 0x3f5db3d7, v1
	v_dual_add_f32 v12, v13, v17 :: v_dual_sub_f32 v19, v15, v16
	v_dual_add_f32 v14, v15, v16 :: v_dual_fmac_f32 v1, 0xbf5db3d7, v18
	v_dual_add_f32 v18, v2, v13 :: v_dual_add_f32 v15, v3, v15
	v_fma_f32 v2, -0.5, v12, v2
	s_delay_alu instid0(VALU_DEP_3)
	v_fmac_f32_e32 v3, -0.5, v14
	global_inv scope:SCOPE_SE
	v_dual_add_f32 v12, v18, v17 :: v_dual_add_f32 v13, v15, v16
	v_fmamk_f32 v14, v19, 0xbf5db3d7, v2
	v_fmamk_f32 v15, v28, 0x3f5db3d7, v3
	v_fmac_f32_e32 v3, 0xbf5db3d7, v28
	v_fmac_f32_e32 v2, 0x3f5db3d7, v19
	ds_store_2addr_b64 v91, v[4:5], v[6:7] offset1:9
	ds_store_b64 v91, v[0:1] offset:144
	ds_store_2addr_b64 v90, v[12:13], v[14:15] offset1:9
	ds_store_b64 v90, v[2:3] offset:144
	s_and_saveexec_b32 s0, vcc_lo
	s_cbranch_execz .LBB0_29
; %bb.28:
	v_dual_mul_f32 v0, v9, v52 :: v_dual_mul_f32 v1, v11, v75
	v_dual_mul_f32 v6, v11, v76 :: v_dual_and_b32 v7, 0xffff, v89
	s_delay_alu instid0(VALU_DEP_2) | instskip(NEXT) | instid1(VALU_DEP_3)
	v_fma_f32 v0, v8, v53, -v0
	v_fma_f32 v3, v10, v76, -v1
	v_mul_f32_e32 v2, v9, v53
	s_delay_alu instid0(VALU_DEP_3) | instskip(NEXT) | instid1(VALU_DEP_3)
	v_dual_fmac_f32 v6, v10, v75 :: v_dual_add_f32 v5, v49, v0
	v_add_f32_e32 v1, v0, v3
	s_delay_alu instid0(VALU_DEP_3) | instskip(SKIP_1) | instid1(VALU_DEP_4)
	v_fmac_f32_e32 v2, v8, v52
	v_sub_f32_e32 v9, v0, v3
	v_add_f32_e32 v3, v5, v3
	s_delay_alu instid0(VALU_DEP_4) | instskip(NEXT) | instid1(VALU_DEP_4)
	v_fma_f32 v1, -0.5, v1, v49
	v_sub_f32_e32 v8, v2, v6
	v_add_f32_e32 v4, v2, v6
	v_add_f32_e32 v2, v48, v2
	s_delay_alu instid0(VALU_DEP_3) | instskip(SKIP_1) | instid1(VALU_DEP_4)
	v_fmamk_f32 v5, v8, 0xbf5db3d7, v1
	v_fmac_f32_e32 v1, 0x3f5db3d7, v8
	v_fma_f32 v0, -0.5, v4, v48
	s_delay_alu instid0(VALU_DEP_4) | instskip(SKIP_1) | instid1(VALU_DEP_3)
	v_add_f32_e32 v2, v2, v6
	v_lshlrev_b32_e32 v6, 3, v7
	v_fmamk_f32 v4, v9, 0x3f5db3d7, v0
	v_fmac_f32_e32 v0, 0xbf5db3d7, v9
	ds_store_2addr_b64 v6, v[2:3], v[0:1] offset1:9
	ds_store_b64 v6, v[4:5] offset:144
.LBB0_29:
	s_wait_alu 0xfffe
	s_or_b32 exec_lo, exec_lo, s0
	global_wb scope:SCOPE_SE
	s_wait_dscnt 0x0
	s_barrier_signal -1
	s_barrier_wait -1
	global_inv scope:SCOPE_SE
	ds_load_2addr_b64 v[0:3], v81 offset1:189
	v_add_nc_u32_e32 v14, 0xa00, v81
	ds_load_b64 v[12:13], v81 offset:9072
	v_add_nc_u32_e32 v15, 0x1600, v81
	s_mov_b32 s2, 0x7a4ab0dc
	s_mov_b32 s3, 0x3f48c498
	s_wait_dscnt 0x1
	v_mul_f32_e32 v16, v33, v3
	v_mul_f32_e32 v17, v33, v2
	ds_load_2addr_b64 v[4:7], v14 offset0:58 offset1:247
	ds_load_2addr_b64 v[8:11], v15 offset0:52 offset1:241
	s_wait_dscnt 0x2
	v_mul_f32_e32 v18, v23, v13
	v_dual_mul_f32 v19, v23, v12 :: v_dual_fmac_f32 v16, v32, v2
	v_fma_f32 v2, v32, v3, -v17
	global_wb scope:SCOPE_SE
	s_wait_dscnt 0x0
	s_barrier_signal -1
	s_barrier_wait -1
	global_inv scope:SCOPE_SE
	v_mul_f32_e32 v23, v25, v7
	v_dual_mul_f32 v3, v35, v5 :: v_dual_fmac_f32 v18, v22, v12
	v_mul_f32_e32 v17, v35, v4
	v_dual_mul_f32 v25, v25, v6 :: v_dual_mul_f32 v28, v27, v9
	v_mul_f32_e32 v27, v27, v8
	v_mul_f32_e32 v29, v21, v11
	v_fma_f32 v12, v22, v13, -v19
	v_mul_f32_e32 v21, v21, v10
	v_fmac_f32_e32 v3, v34, v4
	v_fmac_f32_e32 v28, v26, v8
	v_add_f32_e32 v8, v16, v18
	v_fma_f32 v4, v34, v5, -v17
	v_fmac_f32_e32 v23, v24, v6
	v_fma_f32 v5, v24, v7, -v25
	v_fmac_f32_e32 v29, v20, v10
	v_sub_f32_e32 v10, v16, v18
	v_fma_f32 v6, v26, v9, -v27
	v_add_f32_e32 v9, v2, v12
	v_sub_f32_e32 v2, v2, v12
	v_fma_f32 v7, v20, v11, -v21
	v_mad_co_u64_u32 v[26:27], null, s4, v82, 0
	s_delay_alu instid0(VALU_DEP_2) | instskip(SKIP_1) | instid1(VALU_DEP_1)
	v_dual_add_f32 v13, v5, v6 :: v_dual_add_f32 v12, v4, v7
	v_dual_add_f32 v11, v3, v29 :: v_dual_sub_f32 v4, v4, v7
	v_dual_sub_f32 v5, v6, v5 :: v_dual_add_f32 v6, v11, v8
	v_dual_sub_f32 v16, v28, v23 :: v_dual_add_f32 v7, v23, v28
	s_delay_alu instid0(VALU_DEP_4) | instskip(NEXT) | instid1(VALU_DEP_2)
	v_dual_add_f32 v17, v12, v9 :: v_dual_sub_f32 v18, v11, v8
	v_dual_sub_f32 v3, v3, v29 :: v_dual_sub_f32 v8, v8, v7
	s_delay_alu instid0(VALU_DEP_1)
	v_add_f32_e32 v20, v16, v3
	v_dual_sub_f32 v19, v12, v9 :: v_dual_add_f32 v6, v7, v6
	v_sub_f32_e32 v11, v7, v11
	v_sub_f32_e32 v22, v16, v3
	v_dual_sub_f32 v16, v10, v16 :: v_dual_sub_f32 v3, v3, v10
	v_dual_mul_f32 v8, 0x3f4a47b2, v8 :: v_dual_add_f32 v7, v13, v17
	v_sub_f32_e32 v9, v9, v13
	v_sub_f32_e32 v12, v13, v12
	v_dual_add_f32 v21, v5, v4 :: v_dual_add_f32 v0, v0, v6
	v_dual_sub_f32 v23, v5, v4 :: v_dual_add_f32 v10, v20, v10
	v_mul_f32_e32 v20, 0x3f08b237, v22
	v_mul_f32_e32 v22, 0xbf5ff5aa, v3
	s_delay_alu instid0(VALU_DEP_4) | instskip(SKIP_1) | instid1(VALU_DEP_2)
	v_dual_add_f32 v1, v1, v7 :: v_dual_fmamk_f32 v6, v6, 0xbf955555, v0
	v_dual_sub_f32 v4, v4, v2 :: v_dual_sub_f32 v5, v2, v5
	v_dual_add_f32 v2, v21, v2 :: v_dual_fmamk_f32 v7, v7, 0xbf955555, v1
	v_mul_f32_e32 v9, 0x3f4a47b2, v9
	v_mul_f32_e32 v13, 0x3d64c772, v11
	;; [unrolled: 1-line block ×4, first 2 shown]
	s_delay_alu instid0(VALU_DEP_4) | instskip(NEXT) | instid1(VALU_DEP_4)
	v_dual_fmamk_f32 v11, v11, 0x3d64c772, v8 :: v_dual_fmamk_f32 v12, v12, 0x3d64c772, v9
	v_fma_f32 v13, 0x3f3bfb3b, v18, -v13
	s_delay_alu instid0(VALU_DEP_4)
	v_fma_f32 v17, 0x3f3bfb3b, v19, -v17
	v_mul_f32_e32 v23, 0xbf5ff5aa, v4
	v_fma_f32 v8, 0xbf3bfb3b, v18, -v8
	v_fmamk_f32 v18, v16, 0xbeae86e6, v20
	v_add_f32_e32 v24, v12, v7
	v_fma_f32 v9, 0xbf3bfb3b, v19, -v9
	v_fmamk_f32 v19, v5, 0xbeae86e6, v21
	v_fma_f32 v21, 0xbf5ff5aa, v4, -v21
	v_fma_f32 v16, 0x3eae86e6, v16, -v22
	v_add_f32_e32 v12, v17, v7
	v_fma_f32 v22, 0x3eae86e6, v5, -v23
	v_add_f32_e32 v23, v11, v6
	v_fmac_f32_e32 v19, 0xbee1c552, v2
	v_add_f32_e32 v11, v13, v6
	v_fmac_f32_e32 v21, 0xbee1c552, v2
	v_fma_f32 v20, 0xbf5ff5aa, v3, -v20
	v_add_f32_e32 v13, v8, v6
	v_fmac_f32_e32 v16, 0xbee1c552, v10
	v_fmac_f32_e32 v18, 0xbee1c552, v10
	v_add_f32_e32 v8, v21, v11
	v_dual_add_f32 v17, v9, v7 :: v_dual_fmac_f32 v20, 0xbee1c552, v10
	s_delay_alu instid0(VALU_DEP_3) | instskip(NEXT) | instid1(VALU_DEP_2)
	v_sub_f32_e32 v3, v24, v18
	v_dual_sub_f32 v5, v17, v16 :: v_dual_fmac_f32 v22, 0xbee1c552, v2
	s_delay_alu instid0(VALU_DEP_3) | instskip(SKIP_2) | instid1(VALU_DEP_4)
	v_dual_add_f32 v7, v20, v12 :: v_dual_add_f32 v2, v19, v23
	v_dual_sub_f32 v9, v12, v20 :: v_dual_sub_f32 v12, v23, v19
	v_sub_f32_e32 v6, v11, v21
	v_add_f32_e32 v4, v22, v13
	v_dual_sub_f32 v10, v13, v22 :: v_dual_add_f32 v11, v16, v17
	v_add_f32_e32 v13, v18, v24
	ds_store_2addr_b64 v92, v[0:1], v[2:3] offset1:27
	ds_store_2addr_b64 v92, v[4:5], v[6:7] offset0:54 offset1:81
	ds_store_2addr_b64 v92, v[8:9], v[10:11] offset0:108 offset1:135
	ds_store_b64 v92, v[12:13] offset:1296
	global_wb scope:SCOPE_SE
	s_wait_dscnt 0x0
	s_barrier_signal -1
	s_barrier_wait -1
	global_inv scope:SCOPE_SE
	ds_load_2addr_b64 v[0:3], v81 offset1:189
	ds_load_2addr_b64 v[4:7], v14 offset0:58 offset1:247
	ds_load_2addr_b64 v[8:11], v15 offset0:52 offset1:241
	ds_load_b64 v[12:13], v81 offset:9072
	s_wait_dscnt 0x3
	v_mul_f32_e32 v16, v45, v3
	s_wait_dscnt 0x2
	v_mul_f32_e32 v18, v41, v7
	v_mul_f32_e32 v17, v45, v2
	s_wait_dscnt 0x1
	v_dual_mul_f32 v19, v41, v6 :: v_dual_mul_f32 v20, v43, v9
	v_fmac_f32_e32 v16, v44, v2
	v_fmac_f32_e32 v18, v40, v6
	s_wait_dscnt 0x0
	v_mul_f32_e32 v6, v39, v13
	v_fma_f32 v2, v44, v3, -v17
	v_dual_mul_f32 v3, v47, v5 :: v_dual_fmac_f32 v20, v42, v8
	v_mul_f32_e32 v8, v43, v8
	s_delay_alu instid0(VALU_DEP_4) | instskip(SKIP_1) | instid1(VALU_DEP_4)
	v_fmac_f32_e32 v6, v38, v12
	v_mul_f32_e32 v17, v47, v4
	v_fmac_f32_e32 v3, v46, v4
	s_delay_alu instid0(VALU_DEP_4) | instskip(NEXT) | instid1(VALU_DEP_3)
	v_fma_f32 v8, v42, v9, -v8
	v_fma_f32 v4, v46, v5, -v17
	;; [unrolled: 1-line block ×3, first 2 shown]
	v_mul_f32_e32 v19, v37, v10
	v_mul_f32_e32 v7, v39, v12
	s_delay_alu instid0(VALU_DEP_2) | instskip(SKIP_1) | instid1(VALU_DEP_3)
	v_fma_f32 v9, v36, v11, -v19
	v_mul_f32_e32 v17, v37, v11
	v_fma_f32 v7, v38, v13, -v7
	s_delay_alu instid0(VALU_DEP_3) | instskip(SKIP_1) | instid1(VALU_DEP_4)
	v_add_f32_e32 v12, v4, v9
	v_dual_sub_f32 v4, v4, v9 :: v_dual_add_f32 v9, v18, v20
	v_fmac_f32_e32 v17, v36, v10
	s_delay_alu instid0(VALU_DEP_4) | instskip(SKIP_4) | instid1(VALU_DEP_1)
	v_dual_add_f32 v10, v16, v6 :: v_dual_add_f32 v11, v2, v7
	v_sub_f32_e32 v6, v16, v6
	v_sub_f32_e32 v16, v20, v18
	v_dual_sub_f32 v2, v2, v7 :: v_dual_add_f32 v13, v5, v8
	v_add_f32_e32 v7, v3, v17
	v_dual_sub_f32 v5, v8, v5 :: v_dual_add_f32 v8, v7, v10
	v_sub_f32_e32 v18, v7, v10
	v_sub_f32_e32 v10, v10, v9
	;; [unrolled: 1-line block ×3, first 2 shown]
	s_delay_alu instid0(VALU_DEP_4) | instskip(NEXT) | instid1(VALU_DEP_3)
	v_dual_sub_f32 v19, v12, v11 :: v_dual_add_f32 v8, v9, v8
	v_dual_add_f32 v21, v5, v4 :: v_dual_mul_f32 v10, 0x3f4a47b2, v10
	s_delay_alu instid0(VALU_DEP_3)
	v_sub_f32_e32 v22, v16, v3
	v_add_f32_e32 v17, v12, v11
	v_dual_sub_f32 v11, v11, v13 :: v_dual_add_f32 v20, v16, v3
	v_sub_f32_e32 v12, v13, v12
	v_sub_f32_e32 v7, v9, v7
	;; [unrolled: 1-line block ×3, first 2 shown]
	v_dual_sub_f32 v5, v2, v5 :: v_dual_add_f32 v0, v0, v8
	v_sub_f32_e32 v4, v4, v2
	v_add_f32_e32 v2, v21, v2
	v_dual_add_f32 v9, v13, v17 :: v_dual_sub_f32 v16, v6, v16
	s_delay_alu instid0(VALU_DEP_4) | instskip(SKIP_1) | instid1(VALU_DEP_3)
	v_dual_sub_f32 v3, v3, v6 :: v_dual_fmamk_f32 v8, v8, 0xbf955555, v0
	v_add_f32_e32 v6, v20, v6
	v_dual_mul_f32 v20, 0x3f08b237, v22 :: v_dual_add_f32 v1, v1, v9
	s_delay_alu instid0(VALU_DEP_3) | instskip(SKIP_1) | instid1(VALU_DEP_3)
	v_mul_f32_e32 v22, 0xbf5ff5aa, v3
	v_mul_f32_e32 v17, 0x3d64c772, v12
	v_fmamk_f32 v9, v9, 0xbf955555, v1
	v_mul_f32_e32 v11, 0x3f4a47b2, v11
	v_mul_f32_e32 v13, 0x3d64c772, v7
	v_fmamk_f32 v7, v7, 0x3d64c772, v10
	v_fma_f32 v10, 0xbf3bfb3b, v18, -v10
	v_fma_f32 v17, 0x3f3bfb3b, v19, -v17
	v_fmamk_f32 v12, v12, 0x3d64c772, v11
	v_fma_f32 v13, 0x3f3bfb3b, v18, -v13
	s_delay_alu instid0(VALU_DEP_4) | instskip(NEXT) | instid1(VALU_DEP_3)
	v_dual_mul_f32 v21, 0x3f08b237, v23 :: v_dual_add_f32 v10, v10, v8
	v_dual_mul_f32 v23, 0xbf5ff5aa, v4 :: v_dual_add_f32 v24, v12, v9
	v_fma_f32 v11, 0xbf3bfb3b, v19, -v11
	s_delay_alu instid0(VALU_DEP_4) | instskip(NEXT) | instid1(VALU_DEP_4)
	v_add_f32_e32 v12, v13, v8
	v_dual_fmamk_f32 v18, v16, 0xbeae86e6, v20 :: v_dual_fmamk_f32 v19, v5, 0xbeae86e6, v21
	v_fma_f32 v21, 0xbf5ff5aa, v4, -v21
	v_fma_f32 v20, 0xbf5ff5aa, v3, -v20
	;; [unrolled: 1-line block ×4, first 2 shown]
	v_dual_add_f32 v13, v17, v9 :: v_dual_fmac_f32 v18, 0xbee1c552, v6
	v_fmac_f32_e32 v21, 0xbee1c552, v2
	v_dual_add_f32 v11, v11, v9 :: v_dual_fmac_f32 v20, 0xbee1c552, v6
	v_fmac_f32_e32 v19, 0xbee1c552, v2
	v_fmac_f32_e32 v16, 0xbee1c552, v6
	s_delay_alu instid0(VALU_DEP_4) | instskip(SKIP_2) | instid1(VALU_DEP_3)
	v_dual_sub_f32 v6, v12, v21 :: v_dual_add_f32 v23, v7, v8
	v_fmac_f32_e32 v22, 0xbee1c552, v2
	v_dual_sub_f32 v3, v24, v18 :: v_dual_add_f32 v8, v21, v12
	v_dual_add_f32 v7, v20, v13 :: v_dual_add_f32 v2, v19, v23
	s_delay_alu instid0(VALU_DEP_3)
	v_dual_add_f32 v4, v22, v10 :: v_dual_sub_f32 v5, v11, v16
	v_dual_sub_f32 v10, v10, v22 :: v_dual_sub_f32 v9, v13, v20
	v_add_f32_e32 v11, v16, v11
	v_dual_sub_f32 v12, v23, v19 :: v_dual_add_f32 v13, v18, v24
	ds_store_2addr_b64 v81, v[0:1], v[2:3] offset1:189
	ds_store_2addr_b64 v14, v[4:5], v[6:7] offset0:58 offset1:247
	ds_store_2addr_b64 v15, v[8:9], v[10:11] offset0:52 offset1:241
	ds_store_b64 v81, v[12:13] offset:9072
	v_add_nc_u32_e32 v4, 0xc00, v81
	global_wb scope:SCOPE_SE
	s_wait_dscnt 0x0
	s_barrier_signal -1
	s_barrier_wait -1
	global_inv scope:SCOPE_SE
	ds_load_2addr_b64 v[0:3], v81 offset1:189
	v_add_nc_u32_e32 v8, 0x1a00, v81
	ds_load_2addr_b64 v[4:7], v4 offset0:57 offset1:246
	ds_load_2addr_b64 v[8:11], v8 offset0:50 offset1:239
	v_mad_co_u64_u32 v[24:25], null, s6, v60, 0
	s_delay_alu instid0(VALU_DEP_1)
	v_mad_co_u64_u32 v[28:29], null, s7, v60, v[25:26]
	s_mul_u64 s[6:7], s[4:5], 0x1b9
	s_wait_alu 0xfffe
	s_lshl_b64 s[6:7], s[6:7], 3
	s_wait_dscnt 0x2
	v_mul_f32_e32 v12, v74, v1
	v_mul_f32_e32 v13, v74, v0
	v_mul_f32_e32 v18, v66, v3
	v_mad_co_u64_u32 v[29:30], null, s5, v82, v[27:28]
	s_wait_dscnt 0x0
	v_mul_f32_e32 v16, v68, v9
	v_mul_f32_e32 v15, v72, v4
	v_dual_fmac_f32 v12, v73, v0 :: v_dual_mul_f32 v21, v64, v6
	v_fma_f32 v13, v73, v1, -v13
	v_mul_f32_e32 v14, v72, v5
	v_dual_mul_f32 v17, v68, v8 :: v_dual_fmac_f32 v18, v65, v2
	v_dual_mul_f32 v2, v66, v2 :: v_dual_mov_b32 v27, v29
	v_cvt_f64_f32_e32 v[0:1], v12
	v_cvt_f64_f32_e32 v[12:13], v13
	v_mul_f32_e32 v20, v64, v7
	v_dual_fmac_f32 v14, v71, v4 :: v_dual_mul_f32 v23, v70, v10
	v_mul_f32_e32 v22, v70, v11
	v_fma_f32 v15, v71, v5, -v15
	v_dual_fmac_f32 v16, v67, v8 :: v_dual_mov_b32 v25, v28
	v_fma_f32 v17, v67, v9, -v17
	v_fma_f32 v2, v65, v3, -v2
	;; [unrolled: 1-line block ×3, first 2 shown]
	v_fmac_f32_e32 v20, v63, v6
	v_fmac_f32_e32 v22, v69, v10
	v_fma_f32 v23, v69, v11, -v23
	v_cvt_f64_f32_e32 v[4:5], v14
	v_cvt_f64_f32_e32 v[8:9], v15
	;; [unrolled: 1-line block ×10, first 2 shown]
	v_mul_f64_e32 v[0:1], s[2:3], v[0:1]
	v_mul_f64_e32 v[12:13], s[2:3], v[12:13]
	;; [unrolled: 1-line block ×12, first 2 shown]
	v_cvt_f32_f64_e32 v0, v[0:1]
	v_cvt_f32_f64_e32 v1, v[12:13]
	v_lshlrev_b64_e32 v[12:13], 3, v[24:25]
	v_lshlrev_b64_e32 v[24:25], 3, v[26:27]
	v_cvt_f32_f64_e32 v4, v[4:5]
	v_cvt_f32_f64_e32 v5, v[8:9]
	;; [unrolled: 1-line block ×6, first 2 shown]
	v_add_co_u32 v10, s0, s8, v12
	v_cvt_f32_f64_e32 v14, v[18:19]
	v_cvt_f32_f64_e32 v2, v[6:7]
	s_wait_alu 0xf1ff
	v_add_co_ci_u32_e64 v11, s0, s9, v13, s0
	v_cvt_f32_f64_e32 v6, v[20:21]
	v_cvt_f32_f64_e32 v7, v[22:23]
	v_add_co_u32 v10, s0, v10, v24
	s_wait_alu 0xf1ff
	v_add_co_ci_u32_e64 v11, s0, v11, v25, s0
	s_movk_i32 s8, 0xfd4b
	s_wait_alu 0xfffe
	v_add_co_u32 v12, s0, v10, s6
	s_wait_alu 0xf1ff
	v_add_co_ci_u32_e64 v13, s0, s7, v11, s0
	s_mov_b32 s9, -1
	s_delay_alu instid0(VALU_DEP_2)
	v_add_co_u32 v16, s0, v12, s6
	s_wait_alu 0xfffe
	s_mul_u64 s[4:5], s[4:5], s[8:9]
	v_add_co_ci_u32_e64 v17, s0, s7, v13, s0
	s_wait_alu 0xfffe
	s_lshl_b64 s[4:5], s[4:5], 3
	global_store_b64 v[10:11], v[0:1], off
	s_wait_alu 0xfffe
	v_add_co_u32 v18, s0, v16, s4
	s_wait_alu 0xf1ff
	v_add_co_ci_u32_e64 v19, s0, s5, v17, s0
	s_delay_alu instid0(VALU_DEP_2) | instskip(SKIP_1) | instid1(VALU_DEP_2)
	v_add_co_u32 v20, s0, v18, s6
	s_wait_alu 0xf1ff
	v_add_co_ci_u32_e64 v21, s0, s7, v19, s0
	s_delay_alu instid0(VALU_DEP_2) | instskip(SKIP_1) | instid1(VALU_DEP_2)
	v_add_co_u32 v0, s0, v20, s6
	s_wait_alu 0xf1ff
	v_add_co_ci_u32_e64 v1, s0, s7, v21, s0
	s_clause 0x3
	global_store_b64 v[12:13], v[4:5], off
	global_store_b64 v[16:17], v[8:9], off
	global_store_b64 v[18:19], v[14:15], off
	global_store_b64 v[20:21], v[2:3], off
	global_store_b64 v[0:1], v[6:7], off
	s_and_b32 exec_lo, exec_lo, vcc_lo
	s_cbranch_execz .LBB0_31
; %bb.30:
	s_clause 0x2
	global_load_b64 v[2:3], v[61:62], off offset:3024
	global_load_b64 v[4:5], v[61:62], off offset:6552
	;; [unrolled: 1-line block ×3, first 2 shown]
	ds_load_b64 v[8:9], v81 offset:3024
	ds_load_b64 v[10:11], v81 offset:6552
	;; [unrolled: 1-line block ×3, first 2 shown]
	v_add_co_u32 v0, vcc_lo, v0, s4
	s_wait_alu 0xfffd
	v_add_co_ci_u32_e32 v1, vcc_lo, s5, v1, vcc_lo
	s_wait_loadcnt_dscnt 0x101
	v_dual_mul_f32 v14, v9, v3 :: v_dual_mul_f32 v15, v11, v5
	v_mul_f32_e32 v3, v8, v3
	s_wait_loadcnt_dscnt 0x0
	v_dual_mul_f32 v5, v10, v5 :: v_dual_mul_f32 v16, v13, v7
	v_mul_f32_e32 v7, v12, v7
	v_dual_fmac_f32 v14, v8, v2 :: v_dual_fmac_f32 v15, v10, v4
	v_fma_f32 v8, v2, v9, -v3
	s_delay_alu instid0(VALU_DEP_4)
	v_fma_f32 v9, v4, v11, -v5
	v_fmac_f32_e32 v16, v12, v6
	v_fma_f32 v12, v6, v13, -v7
	v_cvt_f64_f32_e32 v[2:3], v14
	v_cvt_f64_f32_e32 v[4:5], v8
	;; [unrolled: 1-line block ×6, first 2 shown]
	v_mul_f64_e32 v[2:3], s[2:3], v[2:3]
	v_mul_f64_e32 v[4:5], s[2:3], v[4:5]
	;; [unrolled: 1-line block ×6, first 2 shown]
	v_cvt_f32_f64_e32 v2, v[2:3]
	v_cvt_f32_f64_e32 v3, v[4:5]
	;; [unrolled: 1-line block ×6, first 2 shown]
	v_add_co_u32 v8, vcc_lo, v0, s6
	s_wait_alu 0xfffd
	v_add_co_ci_u32_e32 v9, vcc_lo, s7, v1, vcc_lo
	s_delay_alu instid0(VALU_DEP_2) | instskip(SKIP_1) | instid1(VALU_DEP_2)
	v_add_co_u32 v10, vcc_lo, v8, s6
	s_wait_alu 0xfffd
	v_add_co_ci_u32_e32 v11, vcc_lo, s7, v9, vcc_lo
	global_store_b64 v[0:1], v[2:3], off
	global_store_b64 v[8:9], v[4:5], off
	;; [unrolled: 1-line block ×3, first 2 shown]
.LBB0_31:
	s_nop 0
	s_sendmsg sendmsg(MSG_DEALLOC_VGPRS)
	s_endpgm
	.section	.rodata,"a",@progbits
	.p2align	6, 0x0
	.amdhsa_kernel bluestein_single_back_len1323_dim1_sp_op_CI_CI
		.amdhsa_group_segment_fixed_size 10584
		.amdhsa_private_segment_fixed_size 0
		.amdhsa_kernarg_size 104
		.amdhsa_user_sgpr_count 2
		.amdhsa_user_sgpr_dispatch_ptr 0
		.amdhsa_user_sgpr_queue_ptr 0
		.amdhsa_user_sgpr_kernarg_segment_ptr 1
		.amdhsa_user_sgpr_dispatch_id 0
		.amdhsa_user_sgpr_private_segment_size 0
		.amdhsa_wavefront_size32 1
		.amdhsa_uses_dynamic_stack 0
		.amdhsa_enable_private_segment 0
		.amdhsa_system_sgpr_workgroup_id_x 1
		.amdhsa_system_sgpr_workgroup_id_y 0
		.amdhsa_system_sgpr_workgroup_id_z 0
		.amdhsa_system_sgpr_workgroup_info 0
		.amdhsa_system_vgpr_workitem_id 0
		.amdhsa_next_free_vgpr 108
		.amdhsa_next_free_sgpr 18
		.amdhsa_reserve_vcc 1
		.amdhsa_float_round_mode_32 0
		.amdhsa_float_round_mode_16_64 0
		.amdhsa_float_denorm_mode_32 3
		.amdhsa_float_denorm_mode_16_64 3
		.amdhsa_fp16_overflow 0
		.amdhsa_workgroup_processor_mode 1
		.amdhsa_memory_ordered 1
		.amdhsa_forward_progress 0
		.amdhsa_round_robin_scheduling 0
		.amdhsa_exception_fp_ieee_invalid_op 0
		.amdhsa_exception_fp_denorm_src 0
		.amdhsa_exception_fp_ieee_div_zero 0
		.amdhsa_exception_fp_ieee_overflow 0
		.amdhsa_exception_fp_ieee_underflow 0
		.amdhsa_exception_fp_ieee_inexact 0
		.amdhsa_exception_int_div_zero 0
	.end_amdhsa_kernel
	.text
.Lfunc_end0:
	.size	bluestein_single_back_len1323_dim1_sp_op_CI_CI, .Lfunc_end0-bluestein_single_back_len1323_dim1_sp_op_CI_CI
                                        ; -- End function
	.section	.AMDGPU.csdata,"",@progbits
; Kernel info:
; codeLenInByte = 9744
; NumSgprs: 20
; NumVgprs: 108
; ScratchSize: 0
; MemoryBound: 0
; FloatMode: 240
; IeeeMode: 1
; LDSByteSize: 10584 bytes/workgroup (compile time only)
; SGPRBlocks: 2
; VGPRBlocks: 13
; NumSGPRsForWavesPerEU: 20
; NumVGPRsForWavesPerEU: 108
; Occupancy: 12
; WaveLimiterHint : 1
; COMPUTE_PGM_RSRC2:SCRATCH_EN: 0
; COMPUTE_PGM_RSRC2:USER_SGPR: 2
; COMPUTE_PGM_RSRC2:TRAP_HANDLER: 0
; COMPUTE_PGM_RSRC2:TGID_X_EN: 1
; COMPUTE_PGM_RSRC2:TGID_Y_EN: 0
; COMPUTE_PGM_RSRC2:TGID_Z_EN: 0
; COMPUTE_PGM_RSRC2:TIDIG_COMP_CNT: 0
	.text
	.p2alignl 7, 3214868480
	.fill 96, 4, 3214868480
	.type	__hip_cuid_f2782d96071f2786,@object ; @__hip_cuid_f2782d96071f2786
	.section	.bss,"aw",@nobits
	.globl	__hip_cuid_f2782d96071f2786
__hip_cuid_f2782d96071f2786:
	.byte	0                               ; 0x0
	.size	__hip_cuid_f2782d96071f2786, 1

	.ident	"AMD clang version 19.0.0git (https://github.com/RadeonOpenCompute/llvm-project roc-6.4.0 25133 c7fe45cf4b819c5991fe208aaa96edf142730f1d)"
	.section	".note.GNU-stack","",@progbits
	.addrsig
	.addrsig_sym __hip_cuid_f2782d96071f2786
	.amdgpu_metadata
---
amdhsa.kernels:
  - .args:
      - .actual_access:  read_only
        .address_space:  global
        .offset:         0
        .size:           8
        .value_kind:     global_buffer
      - .actual_access:  read_only
        .address_space:  global
        .offset:         8
        .size:           8
        .value_kind:     global_buffer
      - .actual_access:  read_only
        .address_space:  global
        .offset:         16
        .size:           8
        .value_kind:     global_buffer
      - .actual_access:  read_only
        .address_space:  global
        .offset:         24
        .size:           8
        .value_kind:     global_buffer
      - .actual_access:  read_only
        .address_space:  global
        .offset:         32
        .size:           8
        .value_kind:     global_buffer
      - .offset:         40
        .size:           8
        .value_kind:     by_value
      - .address_space:  global
        .offset:         48
        .size:           8
        .value_kind:     global_buffer
      - .address_space:  global
        .offset:         56
        .size:           8
        .value_kind:     global_buffer
      - .address_space:  global
        .offset:         64
        .size:           8
        .value_kind:     global_buffer
      - .address_space:  global
        .offset:         72
        .size:           8
        .value_kind:     global_buffer
      - .offset:         80
        .size:           4
        .value_kind:     by_value
      - .address_space:  global
        .offset:         88
        .size:           8
        .value_kind:     global_buffer
      - .address_space:  global
        .offset:         96
        .size:           8
        .value_kind:     global_buffer
    .group_segment_fixed_size: 10584
    .kernarg_segment_align: 8
    .kernarg_segment_size: 104
    .language:       OpenCL C
    .language_version:
      - 2
      - 0
    .max_flat_workgroup_size: 189
    .name:           bluestein_single_back_len1323_dim1_sp_op_CI_CI
    .private_segment_fixed_size: 0
    .sgpr_count:     20
    .sgpr_spill_count: 0
    .symbol:         bluestein_single_back_len1323_dim1_sp_op_CI_CI.kd
    .uniform_work_group_size: 1
    .uses_dynamic_stack: false
    .vgpr_count:     108
    .vgpr_spill_count: 0
    .wavefront_size: 32
    .workgroup_processor_mode: 1
amdhsa.target:   amdgcn-amd-amdhsa--gfx1201
amdhsa.version:
  - 1
  - 2
...

	.end_amdgpu_metadata
